;; amdgpu-corpus repo=ROCm/rocFFT kind=compiled arch=gfx1201 opt=O3
	.text
	.amdgcn_target "amdgcn-amd-amdhsa--gfx1201"
	.amdhsa_code_object_version 6
	.protected	bluestein_single_fwd_len459_dim1_sp_op_CI_CI ; -- Begin function bluestein_single_fwd_len459_dim1_sp_op_CI_CI
	.globl	bluestein_single_fwd_len459_dim1_sp_op_CI_CI
	.p2align	8
	.type	bluestein_single_fwd_len459_dim1_sp_op_CI_CI,@function
bluestein_single_fwd_len459_dim1_sp_op_CI_CI: ; @bluestein_single_fwd_len459_dim1_sp_op_CI_CI
; %bb.0:
	s_load_b128 s[8:11], s[0:1], 0x28
	v_mul_u32_u24_e32 v1, 0x506, v0
	s_mov_b32 s2, exec_lo
	s_delay_alu instid0(VALU_DEP_1) | instskip(NEXT) | instid1(VALU_DEP_1)
	v_lshrrev_b32_e32 v1, 16, v1
	v_mad_co_u64_u32 v[48:49], null, ttmp9, 5, v[1:2]
	v_mov_b32_e32 v49, 0
                                        ; kill: def $vgpr2 killed $sgpr0 killed $exec
	s_wait_kmcnt 0x0
	s_delay_alu instid0(VALU_DEP_1)
	v_cmpx_gt_u64_e64 s[8:9], v[48:49]
	s_cbranch_execz .LBB0_15
; %bb.1:
	v_mul_hi_u32 v2, 0xcccccccd, v48
	s_clause 0x1
	s_load_b64 s[8:9], s[0:1], 0x0
	s_load_b64 s[12:13], s[0:1], 0x38
	v_mul_lo_u16 v1, v1, 51
	s_delay_alu instid0(VALU_DEP_1) | instskip(NEXT) | instid1(VALU_DEP_3)
	v_sub_nc_u16 v0, v0, v1
	v_lshrrev_b32_e32 v2, 2, v2
	s_delay_alu instid0(VALU_DEP_2) | instskip(NEXT) | instid1(VALU_DEP_2)
	v_and_b32_e32 v78, 0xffff, v0
	v_lshl_add_u32 v2, v2, 2, v2
	v_cmp_gt_u16_e32 vcc_lo, 27, v0
	s_delay_alu instid0(VALU_DEP_3) | instskip(NEXT) | instid1(VALU_DEP_3)
	v_lshlrev_b32_e32 v77, 3, v78
	v_sub_nc_u32_e32 v1, v48, v2
	s_delay_alu instid0(VALU_DEP_1) | instskip(NEXT) | instid1(VALU_DEP_1)
	v_mul_u32_u24_e32 v38, 0x1cb, v1
	v_lshlrev_b32_e32 v79, 3, v38
	s_and_saveexec_b32 s3, vcc_lo
	s_cbranch_execz .LBB0_3
; %bb.2:
	s_load_b64 s[4:5], s[0:1], 0x18
	s_delay_alu instid0(VALU_DEP_1) | instskip(SKIP_1) | instid1(VALU_DEP_2)
	v_add_nc_u32_e32 v47, v79, v77
	v_lshl_add_u32 v73, v78, 3, v79
	v_add_nc_u32_e32 v74, 0x400, v47
	s_wait_kmcnt 0x0
	s_load_b128 s[4:7], s[4:5], 0x0
	s_wait_kmcnt 0x0
	v_mad_co_u64_u32 v[0:1], null, s6, v48, 0
	v_mad_co_u64_u32 v[2:3], null, s4, v78, 0
	s_delay_alu instid0(VALU_DEP_1) | instskip(NEXT) | instid1(VALU_DEP_1)
	v_mad_co_u64_u32 v[4:5], null, s7, v48, v[1:2]
	v_mad_co_u64_u32 v[5:6], null, s5, v78, v[3:4]
	v_mov_b32_e32 v1, v4
	s_mul_u64 s[4:5], s[4:5], 0xd8
	s_delay_alu instid0(VALU_DEP_1) | instskip(NEXT) | instid1(VALU_DEP_3)
	v_lshlrev_b64_e32 v[0:1], 3, v[0:1]
	v_mov_b32_e32 v3, v5
	s_clause 0x3
	global_load_b64 v[4:5], v77, s[8:9]
	global_load_b64 v[6:7], v77, s[8:9] offset:216
	global_load_b64 v[8:9], v77, s[8:9] offset:432
	global_load_b64 v[10:11], v77, s[8:9] offset:648
	v_add_co_u32 v18, s2, s10, v0
	v_lshlrev_b64_e32 v[2:3], 3, v[2:3]
	v_add_co_ci_u32_e64 v19, s2, s11, v1, s2
	s_clause 0xa
	global_load_b64 v[0:1], v77, s[8:9] offset:864
	global_load_b64 v[12:13], v77, s[8:9] offset:1080
	;; [unrolled: 1-line block ×11, first 2 shown]
	v_add_co_u32 v2, s2, v18, v2
	s_wait_alu 0xf1ff
	v_add_co_ci_u32_e64 v3, s2, v19, v3, s2
	s_wait_alu 0xfffe
	s_delay_alu instid0(VALU_DEP_2) | instskip(SKIP_1) | instid1(VALU_DEP_2)
	v_add_co_u32 v18, s2, v2, s4
	s_wait_alu 0xf1ff
	v_add_co_ci_u32_e64 v19, s2, s5, v3, s2
	global_load_b64 v[2:3], v[2:3], off
	v_add_co_u32 v28, s2, v18, s4
	s_wait_alu 0xf1ff
	v_add_co_ci_u32_e64 v29, s2, s5, v19, s2
	s_delay_alu instid0(VALU_DEP_2) | instskip(SKIP_1) | instid1(VALU_DEP_2)
	v_add_co_u32 v36, s2, v28, s4
	s_wait_alu 0xf1ff
	v_add_co_ci_u32_e64 v37, s2, s5, v29, s2
	s_delay_alu instid0(VALU_DEP_2) | instskip(SKIP_1) | instid1(VALU_DEP_2)
	v_add_co_u32 v39, s2, v36, s4
	s_wait_alu 0xf1ff
	v_add_co_ci_u32_e64 v40, s2, s5, v37, s2
	s_clause 0x2
	global_load_b64 v[18:19], v[18:19], off
	global_load_b64 v[28:29], v[28:29], off
	;; [unrolled: 1-line block ×3, first 2 shown]
	v_add_co_u32 v41, s2, v39, s4
	s_wait_alu 0xf1ff
	v_add_co_ci_u32_e64 v42, s2, s5, v40, s2
	global_load_b64 v[39:40], v[39:40], off
	v_add_co_u32 v43, s2, v41, s4
	s_wait_alu 0xf1ff
	v_add_co_ci_u32_e64 v44, s2, s5, v42, s2
	global_load_b64 v[41:42], v[41:42], off
	v_add_co_u32 v45, s2, v43, s4
	s_wait_alu 0xf1ff
	v_add_co_ci_u32_e64 v46, s2, s5, v44, s2
	global_load_b64 v[43:44], v[43:44], off
	v_add_co_u32 v49, s2, v45, s4
	s_wait_alu 0xf1ff
	v_add_co_ci_u32_e64 v50, s2, s5, v46, s2
	global_load_b64 v[45:46], v[45:46], off
	v_add_co_u32 v51, s2, v49, s4
	s_wait_alu 0xf1ff
	v_add_co_ci_u32_e64 v52, s2, s5, v50, s2
	global_load_b64 v[49:50], v[49:50], off
	v_add_co_u32 v53, s2, v51, s4
	s_wait_alu 0xf1ff
	v_add_co_ci_u32_e64 v54, s2, s5, v52, s2
	global_load_b64 v[51:52], v[51:52], off
	v_add_co_u32 v55, s2, v53, s4
	s_wait_alu 0xf1ff
	v_add_co_ci_u32_e64 v56, s2, s5, v54, s2
	global_load_b64 v[53:54], v[53:54], off
	v_add_co_u32 v57, s2, v55, s4
	s_wait_alu 0xf1ff
	v_add_co_ci_u32_e64 v58, s2, s5, v56, s2
	global_load_b64 v[55:56], v[55:56], off
	v_add_co_u32 v59, s2, v57, s4
	s_wait_alu 0xf1ff
	v_add_co_ci_u32_e64 v60, s2, s5, v58, s2
	global_load_b64 v[57:58], v[57:58], off
	v_add_co_u32 v61, s2, v59, s4
	s_wait_alu 0xf1ff
	v_add_co_ci_u32_e64 v62, s2, s5, v60, s2
	global_load_b64 v[59:60], v[59:60], off
	v_add_co_u32 v63, s2, v61, s4
	s_wait_alu 0xf1ff
	v_add_co_ci_u32_e64 v64, s2, s5, v62, s2
	global_load_b64 v[61:62], v[61:62], off
	v_add_co_u32 v65, s2, v63, s4
	s_wait_alu 0xf1ff
	v_add_co_ci_u32_e64 v66, s2, s5, v64, s2
	global_load_b64 v[67:68], v77, s[8:9] offset:3240
	global_load_b64 v[63:64], v[63:64], off
	global_load_b64 v[69:70], v77, s[8:9] offset:3456
	global_load_b64 v[65:66], v[65:66], off
	s_wait_loadcnt 0x12
	v_mul_f32_e32 v71, v3, v5
	v_mul_f32_e32 v5, v2, v5
	s_delay_alu instid0(VALU_DEP_2) | instskip(NEXT) | instid1(VALU_DEP_2)
	v_fmac_f32_e32 v71, v2, v4
	v_fma_f32 v72, v3, v4, -v5
	s_wait_loadcnt 0x11
	v_mul_f32_e32 v2, v19, v7
	s_wait_loadcnt 0x10
	v_dual_mul_f32 v4, v29, v9 :: v_dual_mul_f32 v3, v18, v7
	v_mul_f32_e32 v5, v28, v9
	s_wait_loadcnt 0xf
	v_dual_mul_f32 v7, v36, v11 :: v_dual_fmac_f32 v2, v18, v6
	s_delay_alu instid0(VALU_DEP_3)
	v_fmac_f32_e32 v4, v28, v8
	v_fma_f32 v3, v19, v6, -v3
	s_wait_loadcnt 0xe
	v_dual_mul_f32 v6, v37, v11 :: v_dual_mul_f32 v9, v40, v1
	v_mul_f32_e32 v1, v39, v1
	v_fma_f32 v7, v37, v10, -v7
	s_delay_alu instid0(VALU_DEP_3) | instskip(NEXT) | instid1(VALU_DEP_4)
	v_dual_fmac_f32 v6, v36, v10 :: v_dual_add_nc_u32 v75, 0x800, v47
	v_fmac_f32_e32 v9, v39, v0
	s_delay_alu instid0(VALU_DEP_4) | instskip(SKIP_3) | instid1(VALU_DEP_1)
	v_fma_f32 v10, v40, v0, -v1
	ds_store_b64 v73, v[71:72]
	s_wait_loadcnt 0xb
	v_mul_f32_e32 v0, v46, v17
	v_fmac_f32_e32 v0, v45, v16
	v_fma_f32 v5, v29, v8, -v5
	v_mul_f32_e32 v8, v41, v13
	ds_store_2addr_b64 v47, v[2:3], v[4:5] offset0:27 offset1:54
	ds_store_2addr_b64 v47, v[6:7], v[9:10] offset0:81 offset1:108
	s_wait_loadcnt 0xa
	v_mul_f32_e32 v2, v50, v21
	s_wait_loadcnt 0x9
	v_dual_mul_f32 v4, v52, v23 :: v_dual_mul_f32 v11, v42, v13
	s_wait_loadcnt 0x8
	v_dual_mul_f32 v13, v44, v15 :: v_dual_mul_f32 v6, v54, v25
	v_mul_f32_e32 v15, v43, v15
	s_delay_alu instid0(VALU_DEP_3)
	v_dual_fmac_f32 v4, v51, v22 :: v_dual_fmac_f32 v11, v41, v12
	v_fma_f32 v12, v42, v12, -v8
	s_wait_loadcnt 0x7
	v_dual_mul_f32 v8, v56, v27 :: v_dual_fmac_f32 v13, v43, v14
	v_fmac_f32_e32 v6, v53, v24
	v_fma_f32 v14, v44, v14, -v15
	s_wait_loadcnt 0x6
	v_dual_mul_f32 v10, v58, v31 :: v_dual_mul_f32 v1, v45, v17
	v_dual_fmac_f32 v8, v55, v26 :: v_dual_mul_f32 v3, v49, v21
	ds_store_2addr_b64 v47, v[11:12], v[13:14] offset0:135 offset1:162
	s_wait_loadcnt 0x5
	v_dual_mul_f32 v5, v51, v23 :: v_dual_mul_f32 v12, v60, v33
	v_mul_f32_e32 v7, v53, v25
	v_dual_mul_f32 v9, v55, v27 :: v_dual_fmac_f32 v10, v57, v30
	v_mul_f32_e32 v11, v57, v31
	s_wait_loadcnt 0x4
	v_dual_mul_f32 v14, v62, v35 :: v_dual_mul_f32 v13, v59, v33
	v_mul_f32_e32 v15, v61, v35
	v_fma_f32 v1, v46, v16, -v1
	s_wait_loadcnt 0x0
	v_mul_f32_e32 v18, v66, v70
	v_mul_f32_e32 v16, v64, v68
	;; [unrolled: 1-line block ×4, first 2 shown]
	v_fmac_f32_e32 v2, v49, v20
	v_fma_f32 v3, v50, v20, -v3
	v_fmac_f32_e32 v16, v63, v67
	v_fma_f32 v5, v52, v22, -v5
	;; [unrolled: 2-line block ×3, first 2 shown]
	v_fma_f32 v9, v56, v26, -v9
	v_fma_f32 v11, v58, v30, -v11
	v_fmac_f32_e32 v14, v61, v34
	v_fma_f32 v13, v60, v32, -v13
	v_fma_f32 v15, v62, v34, -v15
	v_fmac_f32_e32 v18, v65, v69
	v_fma_f32 v17, v64, v67, -v17
	v_fma_f32 v19, v66, v69, -v19
	ds_store_2addr_b64 v47, v[0:1], v[2:3] offset0:189 offset1:216
	ds_store_2addr_b64 v74, v[4:5], v[6:7] offset0:115 offset1:142
	;; [unrolled: 1-line block ×5, first 2 shown]
.LBB0_3:
	s_or_b32 exec_lo, exec_lo, s3
	s_clause 0x1
	s_load_b64 s[2:3], s[0:1], 0x20
	s_load_b64 s[4:5], s[0:1], 0x8
	v_mov_b32_e32 v4, 0
	v_mov_b32_e32 v5, 0
	global_wb scope:SCOPE_SE
	s_wait_dscnt 0x0
	s_wait_kmcnt 0x0
	s_barrier_signal -1
	s_barrier_wait -1
	global_inv scope:SCOPE_SE
                                        ; implicit-def: $vgpr22
                                        ; implicit-def: $vgpr8
                                        ; implicit-def: $vgpr12
                                        ; implicit-def: $vgpr16
                                        ; implicit-def: $vgpr36
                                        ; implicit-def: $vgpr26
                                        ; implicit-def: $vgpr30
                                        ; implicit-def: $vgpr34
	s_and_saveexec_b32 s0, vcc_lo
	s_cbranch_execz .LBB0_5
; %bb.4:
	v_lshl_add_u32 v0, v38, 3, v77
	s_delay_alu instid0(VALU_DEP_1)
	v_add_nc_u32_e32 v1, 0x800, v0
	ds_load_2addr_b64 v[4:7], v0 offset1:27
	ds_load_2addr_b64 v[32:35], v0 offset0:54 offset1:81
	ds_load_2addr_b64 v[28:31], v0 offset0:108 offset1:135
	;; [unrolled: 1-line block ×7, first 2 shown]
	ds_load_b64 v[36:37], v0 offset:3456
.LBB0_5:
	s_wait_alu 0xfffe
	s_or_b32 exec_lo, exec_lo, s0
	s_wait_dscnt 0x0
	v_dual_sub_f32 v57, v7, v37 :: v_dual_sub_f32 v56, v6, v36
	v_add_f32_e32 v81, v36, v6
	v_dual_add_f32 v83, v37, v7 :: v_dual_add_f32 v70, v18, v32
	s_delay_alu instid0(VALU_DEP_3) | instskip(NEXT) | instid1(VALU_DEP_4)
	v_dual_mul_f32 v39, 0xbeb8f4ab, v57 :: v_dual_sub_f32 v58, v32, v18
	v_dual_mul_f32 v40, 0xbeb8f4ab, v56 :: v_dual_sub_f32 v59, v33, v19
	v_add_f32_e32 v72, v19, v33
	s_delay_alu instid0(VALU_DEP_3) | instskip(NEXT) | instid1(VALU_DEP_3)
	v_dual_fmamk_f32 v0, v81, 0x3f6eb680, v39 :: v_dual_add_f32 v75, v16, v34
	v_fma_f32 v1, 0x3f6eb680, v83, -v40
	s_delay_alu instid0(VALU_DEP_4) | instskip(NEXT) | instid1(VALU_DEP_3)
	v_dual_mul_f32 v41, 0xbf2c7751, v59 :: v_dual_mul_f32 v42, 0xbf2c7751, v58
	v_dual_add_f32 v0, v0, v4 :: v_dual_mul_f32 v47, 0xbf2c7751, v57
	s_delay_alu instid0(VALU_DEP_3) | instskip(SKIP_1) | instid1(VALU_DEP_4)
	v_dual_sub_f32 v60, v34, v16 :: v_dual_add_f32 v1, v1, v5
	v_dual_sub_f32 v80, v35, v17 :: v_dual_sub_f32 v137, v29, v15
	v_fma_f32 v3, 0x3f3d2fb0, v72, -v42
	v_fmamk_f32 v2, v70, 0x3f3d2fb0, v41
	s_delay_alu instid0(VALU_DEP_3) | instskip(NEXT) | instid1(VALU_DEP_4)
	v_dual_add_f32 v76, v17, v35 :: v_dual_mul_f32 v43, 0xbf65296c, v80
	v_dual_sub_f32 v136, v28, v14 :: v_dual_mul_f32 v45, 0xbf7ee86f, v137
	s_delay_alu instid0(VALU_DEP_4) | instskip(NEXT) | instid1(VALU_DEP_4)
	v_dual_add_f32 v1, v3, v1 :: v_dual_mul_f32 v44, 0xbf65296c, v60
	v_dual_add_f32 v0, v2, v0 :: v_dual_add_f32 v89, v15, v29
	s_delay_alu instid0(VALU_DEP_4) | instskip(NEXT) | instid1(VALU_DEP_3)
	v_dual_fmamk_f32 v2, v75, 0x3ee437d1, v43 :: v_dual_sub_f32 v153, v30, v12
	v_fma_f32 v3, 0x3ee437d1, v76, -v44
	v_dual_mul_f32 v46, 0xbf7ee86f, v136 :: v_dual_add_f32 v97, v13, v31
	v_dual_sub_f32 v154, v31, v13 :: v_dual_sub_f32 v157, v25, v11
	s_delay_alu instid0(VALU_DEP_3) | instskip(NEXT) | instid1(VALU_DEP_3)
	v_dual_add_f32 v88, v14, v28 :: v_dual_add_f32 v1, v3, v1
	v_fma_f32 v3, 0x3dbcf732, v89, -v46
	s_delay_alu instid0(VALU_DEP_3) | instskip(SKIP_2) | instid1(VALU_DEP_4)
	v_dual_mul_f32 v61, 0xbf763a35, v154 :: v_dual_mul_f32 v62, 0xbf763a35, v153
	v_dual_sub_f32 v159, v26, v8 :: v_dual_sub_f32 v160, v27, v9
	v_dual_add_f32 v109, v22, v20 :: v_dual_sub_f32 v156, v24, v10
	v_dual_add_f32 v0, v2, v0 :: v_dual_add_f32 v1, v3, v1
	v_dual_fmamk_f32 v2, v88, 0x3dbcf732, v45 :: v_dual_add_f32 v99, v11, v25
	v_dual_add_f32 v96, v12, v30 :: v_dual_mul_f32 v63, 0xbf4c4adb, v157
	v_fma_f32 v3, 0xbe8c1d8e, v97, -v62
	v_mul_f32_e32 v65, 0xbf06c442, v160
	v_dual_mul_f32 v64, 0xbf4c4adb, v156 :: v_dual_sub_f32 v169, v21, v23
	s_delay_alu instid0(VALU_DEP_3) | instskip(SKIP_1) | instid1(VALU_DEP_3)
	v_dual_add_f32 v0, v2, v0 :: v_dual_add_f32 v1, v3, v1
	v_dual_fmamk_f32 v2, v96, 0xbe8c1d8e, v61 :: v_dual_add_f32 v101, v9, v27
	v_fma_f32 v3, 0xbf1a4643, v99, -v64
	v_add_f32_e32 v98, v10, v24
	v_mul_f32_e32 v66, 0xbf06c442, v159
	s_delay_alu instid0(VALU_DEP_4) | instskip(NEXT) | instid1(VALU_DEP_4)
	v_dual_add_f32 v0, v2, v0 :: v_dual_mul_f32 v67, 0xbe3c28d5, v169
	v_dual_add_f32 v1, v3, v1 :: v_dual_add_f32 v100, v8, v26
	v_mul_f32_e32 v91, 0xbf2c7751, v56
	s_delay_alu instid0(VALU_DEP_4) | instskip(SKIP_3) | instid1(VALU_DEP_4)
	v_fma_f32 v3, 0xbf59a7d5, v101, -v66
	v_fmamk_f32 v2, v98, 0xbf1a4643, v63
	v_fmamk_f32 v49, v81, 0x3f3d2fb0, v47
	v_mul_f32_e32 v82, 0xbf7ee86f, v59
	v_dual_sub_f32 v168, v20, v22 :: v_dual_add_f32 v1, v3, v1
	s_delay_alu instid0(VALU_DEP_4) | instskip(NEXT) | instid1(VALU_DEP_4)
	v_add_f32_e32 v0, v2, v0
	v_add_f32_e32 v3, v49, v4
	s_delay_alu instid0(VALU_DEP_4) | instskip(SKIP_3) | instid1(VALU_DEP_3)
	v_fmamk_f32 v49, v70, 0x3dbcf732, v82
	v_fmamk_f32 v2, v100, 0xbf59a7d5, v65
	v_dual_add_f32 v110, v23, v21 :: v_dual_mul_f32 v93, 0xbf7ee86f, v58
	v_mul_f32_e32 v87, 0xbf4c4adb, v60
	v_dual_add_f32 v3, v49, v3 :: v_dual_add_f32 v0, v2, v0
	v_fmamk_f32 v51, v109, 0xbf7ba420, v67
	v_fma_f32 v2, 0x3f3d2fb0, v83, -v91
	v_fma_f32 v50, 0x3dbcf732, v72, -v93
	v_mul_f32_e32 v84, 0xbf4c4adb, v80
	v_dual_mul_f32 v68, 0xbe3c28d5, v168 :: v_dual_mul_f32 v85, 0xbe3c28d5, v137
	s_delay_alu instid0(VALU_DEP_4) | instskip(SKIP_1) | instid1(VALU_DEP_4)
	v_add_f32_e32 v2, v2, v5
	v_mul_f32_e32 v92, 0x3f06c442, v153
	v_fmamk_f32 v49, v75, 0xbf1a4643, v84
	s_delay_alu instid0(VALU_DEP_4)
	v_fma_f32 v52, 0xbf7ba420, v110, -v68
	v_mul_f32_e32 v86, 0x3f06c442, v154
	v_add_f32_e32 v2, v50, v2
	v_fma_f32 v50, 0xbf1a4643, v76, -v87
	v_add_f32_e32 v3, v49, v3
	v_mul_f32_e32 v69, 0x3f763a35, v157
	v_mul_f32_e32 v71, 0x3f65296c, v160
	s_delay_alu instid0(VALU_DEP_4)
	v_dual_mul_f32 v104, 0xbf65296c, v57 :: v_dual_add_f32 v49, v50, v2
	v_mul_f32_e32 v90, 0xbe3c28d5, v136
	v_add_f32_e32 v2, v51, v0
	v_fma_f32 v51, 0xbf59a7d5, v97, -v92
	v_mul_f32_e32 v73, 0x3f65296c, v159
	v_mul_f32_e32 v111, 0xbf06c442, v169
	v_fma_f32 v53, 0xbf7ba420, v89, -v90
	v_dual_mul_f32 v74, 0x3eb8f4ab, v169 :: v_dual_mul_f32 v95, 0x3eb8f4ab, v168
	v_dual_mul_f32 v106, 0x3f763a35, v137 :: v_dual_mul_f32 v115, 0x3f763a35, v136
	s_delay_alu instid0(VALU_DEP_3) | instskip(SKIP_3) | instid1(VALU_DEP_4)
	v_dual_add_f32 v49, v53, v49 :: v_dual_fmamk_f32 v50, v88, 0xbf7ba420, v85
	v_fmamk_f32 v54, v109, 0xbf59a7d5, v111
	v_mul_f32_e32 v120, 0x3f763a35, v80
	v_dual_mul_f32 v102, 0x3f2c7751, v154 :: v_dual_mul_f32 v117, 0x3f2c7751, v153
	v_dual_add_f32 v0, v50, v3 :: v_dual_add_f32 v3, v52, v1
	v_dual_fmamk_f32 v50, v96, 0xbf59a7d5, v86 :: v_dual_add_f32 v1, v51, v49
	v_mul_f32_e32 v94, 0x3f763a35, v156
	v_fmamk_f32 v49, v98, 0xbe8c1d8e, v69
	s_delay_alu instid0(VALU_DEP_3) | instskip(SKIP_1) | instid1(VALU_DEP_4)
	v_dual_fmamk_f32 v51, v81, 0x3ee437d1, v104 :: v_dual_add_f32 v0, v50, v0
	v_fmamk_f32 v55, v75, 0xbe8c1d8e, v120
	v_fma_f32 v50, 0xbe8c1d8e, v99, -v94
	v_dual_mul_f32 v122, 0xbf7ee86f, v57 :: v_dual_mul_f32 v131, 0xbf7ee86f, v56
	s_delay_alu instid0(VALU_DEP_4) | instskip(NEXT) | instid1(VALU_DEP_3)
	v_dual_add_f32 v0, v49, v0 :: v_dual_fmamk_f32 v49, v100, 0x3ee437d1, v71
	v_add_f32_e32 v1, v50, v1
	v_fma_f32 v50, 0x3ee437d1, v101, -v73
	v_mul_f32_e32 v105, 0xbf4c4adb, v59
	v_mul_f32_e32 v112, 0xbf65296c, v56
	v_add_f32_e32 v0, v49, v0
	v_add_f32_e32 v49, v51, v4
	v_dual_add_f32 v1, v50, v1 :: v_dual_mul_f32 v108, 0x3e3c28d5, v80
	s_delay_alu instid0(VALU_DEP_4)
	v_fma_f32 v51, 0x3ee437d1, v83, -v112
	v_mul_f32_e32 v103, 0xbeb8f4ab, v157
	v_mul_f32_e32 v121, 0x3eb8f4ab, v137
	v_dual_mul_f32 v124, 0xbf65296c, v154 :: v_dual_mul_f32 v127, 0xbf65296c, v153
	v_fmamk_f32 v52, v75, 0xbf7ba420, v108
	v_fmamk_f32 v50, v70, 0xbf1a4643, v105
	v_mul_f32_e32 v123, 0xbe3c28d5, v59
	v_dual_mul_f32 v119, 0xbf06c442, v168 :: v_dual_mul_f32 v126, 0xbf06c442, v157
	v_dual_mul_f32 v125, 0x3f4c4adb, v160 :: v_dual_mul_f32 v130, 0x3f4c4adb, v159
	s_delay_alu instid0(VALU_DEP_4) | instskip(SKIP_3) | instid1(VALU_DEP_4)
	v_add_f32_e32 v49, v50, v49
	v_dual_add_f32 v50, v51, v5 :: v_dual_fmamk_f32 v53, v109, 0x3f6eb680, v74
	v_mul_f32_e32 v113, 0xbf4c4adb, v58
	v_dual_mul_f32 v140, 0x3f2c7751, v80 :: v_dual_mul_f32 v133, 0x3f2c7751, v169
	v_add_f32_e32 v49, v52, v49
	v_fmamk_f32 v52, v88, 0xbe8c1d8e, v106
	v_mul_f32_e32 v114, 0x3e3c28d5, v60
	v_add_f32_e32 v0, v53, v0
	v_fma_f32 v51, 0xbf1a4643, v72, -v113
	v_fma_f32 v53, 0x3f6eb680, v110, -v95
	v_add_f32_e32 v49, v52, v49
	v_dual_fmamk_f32 v52, v96, 0x3f3d2fb0, v102 :: v_dual_fmamk_f32 v141, v109, 0x3f3d2fb0, v133
	s_delay_alu instid0(VALU_DEP_4) | instskip(SKIP_2) | instid1(VALU_DEP_4)
	v_add_f32_e32 v50, v51, v50
	v_fma_f32 v51, 0xbf7ba420, v76, -v114
	v_add_f32_e32 v1, v53, v1
	v_dual_add_f32 v49, v52, v49 :: v_dual_fmamk_f32 v52, v98, 0x3f6eb680, v103
	v_mul_f32_e32 v116, 0xbeb8f4ab, v156
	s_delay_alu instid0(VALU_DEP_4)
	v_add_f32_e32 v50, v51, v50
	v_fma_f32 v51, 0xbe8c1d8e, v89, -v115
	v_fma_f32 v53, 0x3dbcf732, v83, -v131
	v_add_f32_e32 v49, v52, v49
	v_mul_f32_e32 v129, 0x3eb8f4ab, v136
	v_mul_f32_e32 v128, 0xbf06c442, v156
	v_add_f32_e32 v50, v51, v50
	v_fma_f32 v51, 0x3f3d2fb0, v97, -v117
	v_mul_f32_e32 v107, 0xbf7ee86f, v160
	v_dual_mul_f32 v163, 0x3f763a35, v59 :: v_dual_mul_f32 v172, 0x3f763a35, v58
	v_mul_f32_e32 v138, 0xbf763a35, v57
	s_delay_alu instid0(VALU_DEP_4)
	v_add_f32_e32 v50, v51, v50
	v_fma_f32 v51, 0x3f6eb680, v99, -v116
	v_fmamk_f32 v52, v100, 0x3dbcf732, v107
	v_mul_f32_e32 v118, 0xbf7ee86f, v159
	v_fmamk_f32 v158, v70, 0xbe8c1d8e, v163
	v_mul_f32_e32 v150, 0xbf763a35, v56
	s_delay_alu instid0(VALU_DEP_4) | instskip(NEXT) | instid1(VALU_DEP_4)
	v_dual_add_f32 v50, v51, v50 :: v_dual_add_f32 v49, v52, v49
	v_fma_f32 v51, 0x3dbcf732, v101, -v118
	v_fmamk_f32 v52, v81, 0x3dbcf732, v122
	v_fma_f32 v162, 0xbe8c1d8e, v72, -v172
	s_delay_alu instid0(VALU_DEP_4) | instskip(NEXT) | instid1(VALU_DEP_3)
	v_dual_mul_f32 v152, 0x3f2c7751, v60 :: v_dual_add_f32 v49, v54, v49
	v_dual_add_f32 v50, v51, v50 :: v_dual_add_f32 v51, v52, v4
	v_fmamk_f32 v52, v70, 0xbf7ba420, v123
	v_fmamk_f32 v54, v88, 0x3f6eb680, v121
	v_mul_f32_e32 v139, 0x3f06c442, v59
	v_mul_f32_e32 v142, 0xbf65296c, v137
	s_delay_alu instid0(VALU_DEP_4) | instskip(SKIP_2) | instid1(VALU_DEP_3)
	v_dual_mul_f32 v148, 0x3f7ee86f, v156 :: v_dual_add_f32 v51, v52, v51
	v_dual_add_f32 v52, v53, v5 :: v_dual_mul_f32 v151, 0x3f06c442, v58
	v_dual_mul_f32 v146, 0xbeb8f4ab, v159 :: v_dual_mul_f32 v173, 0xbeb8f4ab, v60
	v_add_f32_e32 v51, v55, v51
	v_fma_f32 v55, 0xbf59a7d5, v110, -v119
	s_delay_alu instid0(VALU_DEP_4)
	v_fma_f32 v135, 0xbf59a7d5, v72, -v151
	v_fma_f32 v145, 0x3dbcf732, v99, -v148
	v_mul_f32_e32 v175, 0x3f7ee86f, v153
	v_dual_add_f32 v51, v54, v51 :: v_dual_fmamk_f32 v54, v96, 0x3ee437d1, v124
	v_add_f32_e32 v50, v55, v50
	v_fma_f32 v55, 0xbe8c1d8e, v83, -v150
	v_mul_f32_e32 v147, 0xbf65296c, v136
	v_fma_f32 v176, 0x3dbcf732, v97, -v175
	v_add_f32_e32 v51, v54, v51
	s_delay_alu instid0(VALU_DEP_4) | instskip(SKIP_2) | instid1(VALU_DEP_3)
	v_dual_fmamk_f32 v54, v98, 0xbf59a7d5, v126 :: v_dual_add_f32 v55, v55, v5
	v_mul_f32_e32 v161, 0xbf4c4adb, v57
	v_mul_f32_e32 v170, 0xbf2c7751, v156
	v_dual_mul_f32 v164, 0xbeb8f4ab, v80 :: v_dual_add_f32 v51, v54, v51
	v_fmamk_f32 v54, v100, 0xbf1a4643, v125
	v_mul_f32_e32 v132, 0xbe3c28d5, v58
	s_delay_alu instid0(VALU_DEP_4) | instskip(SKIP_1) | instid1(VALU_DEP_4)
	v_fma_f32 v179, 0x3f3d2fb0, v99, -v170
	v_dual_mul_f32 v166, 0xbf06c442, v137 :: v_dual_mul_f32 v195, 0xbf06c442, v56
	v_add_f32_e32 v51, v54, v51
	s_delay_alu instid0(VALU_DEP_4) | instskip(SKIP_2) | instid1(VALU_DEP_4)
	v_fma_f32 v53, 0xbf7ba420, v72, -v132
	v_mul_f32_e32 v134, 0x3f763a35, v60
	v_fmamk_f32 v54, v81, 0xbe8c1d8e, v138
	v_dual_mul_f32 v178, 0xbf06c442, v57 :: v_dual_add_f32 v51, v141, v51
	s_delay_alu instid0(VALU_DEP_4) | instskip(NEXT) | instid1(VALU_DEP_4)
	v_add_f32_e32 v52, v53, v52
	v_fma_f32 v53, 0xbe8c1d8e, v76, -v134
	v_mul_f32_e32 v141, 0x3f7ee86f, v157
	v_mul_f32_e32 v174, 0xbf06c442, v136
	v_fmamk_f32 v180, v81, 0xbf59a7d5, v178
	v_fma_f32 v183, 0xbf59a7d5, v83, -v195
	v_add_f32_e32 v52, v53, v52
	v_fma_f32 v53, 0x3f6eb680, v89, -v129
	v_mul_f32_e32 v167, 0x3f7ee86f, v154
	v_mul_f32_e32 v188, 0xbf7ee86f, v60
	;; [unrolled: 1-line block ×4, first 2 shown]
	v_add_f32_e32 v52, v53, v52
	v_fma_f32 v53, 0x3ee437d1, v97, -v127
	v_mul_f32_e32 v193, 0xbeb8f4ab, v153
	v_mul_f32_e32 v199, 0xbf763a35, v169
	;; [unrolled: 1-line block ×3, first 2 shown]
	s_delay_alu instid0(VALU_DEP_4)
	v_dual_mul_f32 v197, 0xbf4c4adb, v153 :: v_dual_add_f32 v52, v53, v52
	v_fma_f32 v53, 0xbf59a7d5, v99, -v128
	global_wb scope:SCOPE_SE
	s_barrier_signal -1
	s_barrier_wait -1
	global_inv scope:SCOPE_SE
	v_add_f32_e32 v52, v53, v52
	v_fma_f32 v53, 0xbf1a4643, v101, -v130
	v_add_f32_e32 v181, v180, v4
	v_mul_f32_e32 v180, 0xbf7ee86f, v80
	v_mul_f32_e32 v186, 0x3f65296c, v58
	;; [unrolled: 1-line block ×3, first 2 shown]
	v_add_f32_e32 v52, v53, v52
	v_add_f32_e32 v53, v54, v4
	v_fmamk_f32 v54, v70, 0xbf59a7d5, v139
	v_fmamk_f32 v184, v75, 0x3dbcf732, v180
	v_mul_f32_e32 v198, 0x3f65296c, v156
	v_mul_f32_e32 v196, 0x3f2c7751, v159
	s_delay_alu instid0(VALU_DEP_4)
	v_dual_mul_f32 v200, 0xbf763a35, v168 :: v_dual_add_f32 v53, v54, v53
	v_add_f32_e32 v54, v135, v55
	v_fma_f32 v135, 0x3f3d2fb0, v76, -v152
	v_fmamk_f32 v55, v75, 0x3f3d2fb0, v140
	v_fma_f32 v60, 0x3f3d2fb0, v101, -v196
	v_mul_f32_e32 v202, 0x3eb8f4ab, v58
	s_delay_alu instid0(VALU_DEP_4) | instskip(SKIP_2) | instid1(VALU_DEP_2)
	v_add_f32_e32 v54, v135, v54
	v_fma_f32 v135, 0x3ee437d1, v89, -v147
	v_add_f32_e32 v53, v55, v53
	v_dual_fmamk_f32 v55, v88, 0x3ee437d1, v142 :: v_dual_add_f32 v54, v135, v54
	v_mul_f32_e32 v149, 0xbe3c28d5, v153
	v_mul_f32_e32 v135, 0x3f2c7751, v168
	s_delay_alu instid0(VALU_DEP_3) | instskip(NEXT) | instid1(VALU_DEP_3)
	v_add_f32_e32 v53, v55, v53
	v_fma_f32 v144, 0xbf7ba420, v97, -v149
	s_delay_alu instid0(VALU_DEP_3) | instskip(SKIP_1) | instid1(VALU_DEP_3)
	v_fma_f32 v155, 0x3f3d2fb0, v110, -v135
	v_mul_f32_e32 v143, 0xbe3c28d5, v154
	v_add_f32_e32 v54, v144, v54
	s_delay_alu instid0(VALU_DEP_2) | instskip(SKIP_1) | instid1(VALU_DEP_3)
	v_dual_add_f32 v52, v155, v52 :: v_dual_fmamk_f32 v55, v96, 0xbf7ba420, v143
	v_mul_f32_e32 v144, 0xbeb8f4ab, v160
	v_add_f32_e32 v54, v145, v54
	v_fma_f32 v145, 0x3f6eb680, v101, -v146
	s_delay_alu instid0(VALU_DEP_4) | instskip(NEXT) | instid1(VALU_DEP_2)
	v_add_f32_e32 v53, v55, v53
	v_dual_fmamk_f32 v55, v98, 0x3dbcf732, v141 :: v_dual_add_f32 v54, v145, v54
	v_mul_f32_e32 v171, 0xbf4c4adb, v56
	s_delay_alu instid0(VALU_DEP_2) | instskip(SKIP_1) | instid1(VALU_DEP_3)
	v_add_f32_e32 v53, v55, v53
	v_mul_f32_e32 v145, 0xbf4c4adb, v169
	v_fma_f32 v155, 0xbf1a4643, v83, -v171
	s_delay_alu instid0(VALU_DEP_2) | instskip(NEXT) | instid1(VALU_DEP_2)
	v_fmamk_f32 v165, v109, 0xbf1a4643, v145
	v_add_f32_e32 v155, v155, v5
	s_delay_alu instid0(VALU_DEP_1) | instskip(SKIP_2) | instid1(VALU_DEP_1)
	v_add_f32_e32 v155, v162, v155
	v_fma_f32 v162, 0x3f6eb680, v76, -v173
	v_fmamk_f32 v55, v100, 0x3f6eb680, v144
	v_add_f32_e32 v53, v55, v53
	v_fmamk_f32 v55, v81, 0xbf1a4643, v161
	s_delay_alu instid0(VALU_DEP_2) | instskip(NEXT) | instid1(VALU_DEP_2)
	v_add_f32_e32 v53, v165, v53
	v_add_f32_e32 v55, v55, v4
	v_fma_f32 v165, 0xbf59a7d5, v89, -v174
	s_delay_alu instid0(VALU_DEP_2) | instskip(NEXT) | instid1(VALU_DEP_1)
	v_dual_add_f32 v55, v158, v55 :: v_dual_fmamk_f32 v158, v75, 0x3f6eb680, v164
	v_add_f32_e32 v55, v158, v55
	v_dual_add_f32 v158, v162, v155 :: v_dual_mul_f32 v155, 0xbf4c4adb, v168
	s_delay_alu instid0(VALU_DEP_1) | instskip(NEXT) | instid1(VALU_DEP_2)
	v_dual_add_f32 v158, v165, v158 :: v_dual_fmamk_f32 v165, v96, 0x3dbcf732, v167
	v_fma_f32 v177, 0xbf1a4643, v110, -v155
	s_delay_alu instid0(VALU_DEP_2) | instskip(NEXT) | instid1(VALU_DEP_2)
	v_add_f32_e32 v158, v176, v158
	v_add_f32_e32 v54, v177, v54
	s_delay_alu instid0(VALU_DEP_2) | instskip(NEXT) | instid1(VALU_DEP_1)
	v_dual_add_f32 v158, v179, v158 :: v_dual_mul_f32 v179, 0x3f65296c, v59
	v_fmamk_f32 v182, v70, 0x3ee437d1, v179
	v_fmamk_f32 v162, v88, 0xbf59a7d5, v166
	s_delay_alu instid0(VALU_DEP_1) | instskip(NEXT) | instid1(VALU_DEP_1)
	v_dual_add_f32 v55, v162, v55 :: v_dual_mul_f32 v162, 0xbf2c7751, v157
	v_dual_add_f32 v55, v165, v55 :: v_dual_fmamk_f32 v176, v98, 0x3f3d2fb0, v162
	v_mul_f32_e32 v165, 0xbe3c28d5, v160
	s_delay_alu instid0(VALU_DEP_2) | instskip(SKIP_1) | instid1(VALU_DEP_3)
	v_add_f32_e32 v55, v176, v55
	v_mul_f32_e32 v176, 0xbe3c28d5, v159
	v_fmamk_f32 v177, v100, 0xbf7ba420, v165
	v_mul_f32_e32 v159, 0xbf763a35, v159
	s_delay_alu instid0(VALU_DEP_2) | instskip(NEXT) | instid1(VALU_DEP_4)
	v_add_f32_e32 v55, v177, v55
	v_fma_f32 v177, 0xbf7ba420, v101, -v176
	s_delay_alu instid0(VALU_DEP_1) | instskip(NEXT) | instid1(VALU_DEP_1)
	v_dual_add_f32 v205, v177, v158 :: v_dual_mul_f32 v158, 0x3f65296c, v169
	v_fmamk_f32 v187, v109, 0x3ee437d1, v158
	v_add_f32_e32 v177, v182, v181
	v_add_f32_e32 v182, v183, v5
	v_fma_f32 v183, 0x3ee437d1, v72, -v186
	v_mul_f32_e32 v181, 0x3f4c4adb, v137
	v_add_f32_e32 v55, v187, v55
	v_add_f32_e32 v177, v184, v177
	v_fma_f32 v184, 0x3dbcf732, v76, -v188
	s_delay_alu instid0(VALU_DEP_4) | instskip(SKIP_1) | instid1(VALU_DEP_2)
	v_dual_add_f32 v182, v183, v182 :: v_dual_fmamk_f32 v185, v88, 0xbf1a4643, v181
	v_mul_f32_e32 v183, 0xbeb8f4ab, v154
	v_dual_add_f32 v182, v184, v182 :: v_dual_add_f32 v177, v185, v177
	v_fma_f32 v185, 0xbf1a4643, v89, -v191
	s_delay_alu instid0(VALU_DEP_3) | instskip(SKIP_1) | instid1(VALU_DEP_3)
	v_fmamk_f32 v189, v96, 0x3f6eb680, v183
	v_mul_f32_e32 v184, 0xbe3c28d5, v157
	v_dual_mul_f32 v157, 0x3f65296c, v157 :: v_dual_add_f32 v182, v185, v182
	v_mul_f32_e32 v185, 0x3f2c7751, v160
	s_delay_alu instid0(VALU_DEP_3) | instskip(SKIP_2) | instid1(VALU_DEP_4)
	v_dual_add_f32 v187, v189, v177 :: v_dual_fmamk_f32 v190, v98, 0xbf7ba420, v184
	v_fma_f32 v189, 0x3f6eb680, v97, -v193
	v_mul_f32_e32 v160, 0xbf763a35, v160
	v_fmamk_f32 v192, v100, 0x3f3d2fb0, v185
	s_delay_alu instid0(VALU_DEP_4) | instskip(NEXT) | instid1(VALU_DEP_4)
	v_dual_fmamk_f32 v136, v109, 0xbe8c1d8e, v199 :: v_dual_add_f32 v187, v190, v187
	v_add_f32_e32 v189, v189, v182
	v_mul_f32_e32 v177, 0x3f65296c, v168
	v_mul_f32_e32 v168, 0x3f7ee86f, v168
	s_delay_alu instid0(VALU_DEP_4)
	v_add_f32_e32 v206, v192, v187
	v_mul_f32_e32 v187, 0x3eb8f4ab, v59
	v_fma_f32 v59, 0xbf7ba420, v83, -v201
	v_fma_f32 v192, 0x3f6eb680, v72, -v202
	v_mul_f32_e32 v182, 0xbe3c28d5, v57
	v_fma_f32 v57, 0x3ee437d1, v110, -v177
	s_delay_alu instid0(VALU_DEP_4) | instskip(NEXT) | instid1(VALU_DEP_1)
	v_dual_add_f32 v59, v59, v5 :: v_dual_mul_f32 v194, 0xbe3c28d5, v156
	v_dual_mul_f32 v156, 0x3f7ee86f, v169 :: v_dual_add_f32 v59, v192, v59
	s_delay_alu instid0(VALU_DEP_2) | instskip(SKIP_1) | instid1(VALU_DEP_2)
	v_fma_f32 v190, 0xbf7ba420, v99, -v194
	v_fma_f32 v192, 0xbf59a7d5, v76, -v203
	v_dual_fmamk_f32 v153, v109, 0x3dbcf732, v156 :: v_dual_add_f32 v56, v190, v189
	v_fmamk_f32 v189, v81, 0xbf7ba420, v182
	v_fmamk_f32 v190, v70, 0x3f6eb680, v187
	s_delay_alu instid0(VALU_DEP_3) | instskip(NEXT) | instid1(VALU_DEP_3)
	v_add_f32_e32 v60, v60, v56
	v_add_f32_e32 v58, v189, v4
	s_delay_alu instid0(VALU_DEP_1) | instskip(NEXT) | instid1(VALU_DEP_1)
	v_dual_mul_f32 v189, 0xbf06c442, v80 :: v_dual_add_f32 v58, v190, v58
	v_fmamk_f32 v80, v75, 0xbf59a7d5, v189
	v_mul_f32_e32 v190, 0x3f2c7751, v137
	v_fma_f32 v137, 0xbe8c1d8e, v110, -v200
	s_delay_alu instid0(VALU_DEP_3) | instskip(SKIP_1) | instid1(VALU_DEP_4)
	v_add_f32_e32 v56, v80, v58
	v_add_f32_e32 v58, v192, v59
	v_fmamk_f32 v59, v88, 0x3f3d2fb0, v190
	v_mul_f32_e32 v192, 0xbf4c4adb, v154
	v_fma_f32 v80, 0x3f3d2fb0, v89, -v204
	v_fma_f32 v154, 0x3dbcf732, v110, -v168
	s_delay_alu instid0(VALU_DEP_3) | instskip(NEXT) | instid1(VALU_DEP_3)
	v_dual_add_f32 v56, v59, v56 :: v_dual_fmamk_f32 v59, v96, 0xbf1a4643, v192
	v_add_f32_e32 v58, v80, v58
	s_delay_alu instid0(VALU_DEP_2) | instskip(SKIP_1) | instid1(VALU_DEP_1)
	v_add_f32_e32 v56, v59, v56
	v_fma_f32 v80, 0xbf1a4643, v97, -v197
	v_add_f32_e32 v58, v80, v58
	v_fma_f32 v80, 0x3ee437d1, v99, -v198
	s_delay_alu instid0(VALU_DEP_1) | instskip(NEXT) | instid1(VALU_DEP_1)
	v_dual_fmamk_f32 v59, v98, 0x3ee437d1, v157 :: v_dual_add_f32 v58, v80, v58
	v_dual_add_f32 v56, v59, v56 :: v_dual_fmamk_f32 v59, v100, 0xbe8c1d8e, v160
	v_fma_f32 v80, 0xbe8c1d8e, v101, -v159
	s_delay_alu instid0(VALU_DEP_1) | instskip(SKIP_2) | instid1(VALU_DEP_3)
	v_dual_add_f32 v59, v59, v56 :: v_dual_add_f32 v80, v80, v58
	v_dual_add_f32 v56, v57, v205 :: v_dual_add_f32 v57, v136, v206
	v_add_f32_e32 v58, v137, v60
	v_dual_add_f32 v60, v154, v80 :: v_dual_add_f32 v59, v153, v59
	v_mul_lo_u16 v80, v78, 17
	s_and_saveexec_b32 s0, vcc_lo
	s_cbranch_execz .LBB0_7
; %bb.6:
	v_dual_mul_f32 v169, 0xbf7ba420, v83 :: v_dual_mul_f32 v214, 0xbf7ba420, v81
	v_mul_f32_e32 v213, 0xbf59a7d5, v81
	v_dual_mul_f32 v136, 0x3f6eb680, v81 :: v_dual_mul_f32 v137, 0x3f6eb680, v83
	s_delay_alu instid0(VALU_DEP_3) | instskip(NEXT) | instid1(VALU_DEP_3)
	v_dual_add_f32 v169, v201, v169 :: v_dual_mul_f32 v210, 0xbe8c1d8e, v83
	v_dual_mul_f32 v201, 0x3f6eb680, v72 :: v_dual_sub_f32 v178, v213, v178
	v_mul_f32_e32 v211, 0xbf1a4643, v81
	s_delay_alu instid0(VALU_DEP_3) | instskip(NEXT) | instid1(VALU_DEP_3)
	v_dual_add_f32 v169, v169, v5 :: v_dual_mul_f32 v212, 0xbf1a4643, v83
	v_dual_add_f32 v201, v202, v201 :: v_dual_mul_f32 v202, 0xbf59a7d5, v76
	s_delay_alu instid0(VALU_DEP_4) | instskip(NEXT) | instid1(VALU_DEP_2)
	v_dual_add_f32 v178, v178, v4 :: v_dual_mul_f32 v153, 0x3f3d2fb0, v81
	v_dual_mul_f32 v154, 0x3f3d2fb0, v83 :: v_dual_add_f32 v169, v201, v169
	s_delay_alu instid0(VALU_DEP_3) | instskip(SKIP_2) | instid1(VALU_DEP_3)
	v_dual_add_f32 v201, v203, v202 :: v_dual_mul_f32 v202, 0x3f3d2fb0, v89
	v_dual_mul_f32 v205, 0x3ee437d1, v81 :: v_dual_mul_f32 v206, 0x3ee437d1, v83
	v_dual_mul_f32 v207, 0x3dbcf732, v81 :: v_dual_mul_f32 v208, 0x3dbcf732, v83
	v_add_f32_e32 v169, v201, v169
	s_delay_alu instid0(VALU_DEP_4) | instskip(SKIP_1) | instid1(VALU_DEP_2)
	v_dual_add_f32 v201, v204, v202 :: v_dual_mul_f32 v204, 0x3dbcf732, v72
	v_dual_mul_f32 v202, 0x3dbcf732, v70 :: v_dual_sub_f32 v47, v153, v47
	v_dual_sub_f32 v182, v214, v182 :: v_dual_add_f32 v169, v201, v169
	v_mul_f32_e32 v201, 0x3ee437d1, v70
	v_mul_f32_e32 v214, 0xbe8c1d8e, v88
	;; [unrolled: 1-line block ×3, first 2 shown]
	s_delay_alu instid0(VALU_DEP_4)
	v_add_f32_e32 v182, v182, v4
	v_add_f32_e32 v131, v131, v208
	v_sub_f32_e32 v179, v201, v179
	v_mul_f32_e32 v203, 0xbf59a7d5, v83
	v_add_f32_e32 v91, v91, v154
	v_add_f32_e32 v93, v93, v204
	;; [unrolled: 1-line block ×5, first 2 shown]
	v_mul_f32_e32 v203, 0x3ee437d1, v72
	v_mul_f32_e32 v209, 0xbe8c1d8e, v81
	;; [unrolled: 1-line block ×3, first 2 shown]
	v_add_f32_e32 v7, v7, v5
	s_delay_alu instid0(VALU_DEP_4) | instskip(NEXT) | instid1(VALU_DEP_3)
	v_dual_add_f32 v195, v195, v5 :: v_dual_add_f32 v186, v186, v203
	v_dual_sub_f32 v138, v209, v138 :: v_dual_add_f32 v179, v191, v179
	v_mul_f32_e32 v191, 0xbf7ba420, v72
	s_delay_alu instid0(VALU_DEP_3) | instskip(NEXT) | instid1(VALU_DEP_3)
	v_dual_mul_f32 v209, 0xbf59a7d5, v110 :: v_dual_add_f32 v186, v186, v195
	v_dual_mul_f32 v195, 0x3dbcf732, v75 :: v_dual_add_f32 v138, v138, v4
	s_delay_alu instid0(VALU_DEP_1) | instskip(NEXT) | instid1(VALU_DEP_1)
	v_dual_sub_f32 v180, v195, v180 :: v_dual_mul_f32 v195, 0xbf7ba420, v70
	v_dual_add_f32 v178, v180, v178 :: v_dual_mul_f32 v203, 0x3dbcf732, v76
	v_mul_f32_e32 v81, 0x3f3d2fb0, v70
	v_mul_f32_e32 v180, 0x3f6eb680, v97
	s_delay_alu instid0(VALU_DEP_3) | instskip(NEXT) | instid1(VALU_DEP_2)
	v_dual_add_f32 v188, v188, v203 :: v_dual_mul_f32 v83, 0x3f3d2fb0, v72
	v_add_f32_e32 v180, v193, v180
	s_delay_alu instid0(VALU_DEP_2) | instskip(NEXT) | instid1(VALU_DEP_1)
	v_add_f32_e32 v186, v188, v186
	v_dual_mul_f32 v188, 0xbf1a4643, v88 :: v_dual_add_f32 v179, v179, v186
	s_delay_alu instid0(VALU_DEP_1) | instskip(NEXT) | instid1(VALU_DEP_1)
	v_dual_mul_f32 v186, 0x3f6eb680, v96 :: v_dual_sub_f32 v181, v188, v181
	v_dual_mul_f32 v188, 0xbf59a7d5, v70 :: v_dual_sub_f32 v183, v186, v183
	v_mul_f32_e32 v186, 0xbf7ba420, v99
	s_delay_alu instid0(VALU_DEP_2) | instskip(SKIP_1) | instid1(VALU_DEP_3)
	v_dual_add_f32 v178, v181, v178 :: v_dual_sub_f32 v139, v188, v139
	v_mul_f32_e32 v188, 0xbf7ba420, v109
	v_add_f32_e32 v186, v194, v186
	v_mul_f32_e32 v194, 0x3ee437d1, v75
	v_dual_add_f32 v179, v180, v179 :: v_dual_mul_f32 v180, 0xbf7ba420, v98
	v_mul_f32_e32 v201, 0xbf1a4643, v70
	s_delay_alu instid0(VALU_DEP_2)
	v_dual_add_f32 v179, v186, v179 :: v_dual_sub_f32 v180, v180, v184
	v_mul_f32_e32 v184, 0x3ee437d1, v76
	v_dual_mul_f32 v203, 0xbf1a4643, v72 :: v_dual_add_f32 v178, v183, v178
	v_mul_f32_e32 v193, 0xbf59a7d5, v72
	v_mul_f32_e32 v186, 0x3f3d2fb0, v100
	;; [unrolled: 1-line block ×3, first 2 shown]
	s_delay_alu instid0(VALU_DEP_4)
	v_dual_add_f32 v138, v139, v138 :: v_dual_add_f32 v113, v113, v203
	v_add_f32_e32 v178, v180, v178
	v_mul_f32_e32 v180, 0xbe8c1d8e, v110
	v_mul_f32_e32 v181, 0xbe8c1d8e, v70
	v_dual_mul_f32 v70, 0x3f6eb680, v70 :: v_dual_sub_f32 v185, v186, v185
	v_mul_f32_e32 v186, 0xbf1a4643, v76
	s_delay_alu instid0(VALU_DEP_4) | instskip(SKIP_1) | instid1(VALU_DEP_4)
	v_add_f32_e32 v180, v200, v180
	v_mul_f32_e32 v200, 0xbf1a4643, v97
	v_sub_f32_e32 v70, v70, v187
	v_dual_add_f32 v72, v172, v72 :: v_dual_add_f32 v151, v151, v193
	v_mul_f32_e32 v193, 0x3ee437d1, v100
	s_delay_alu instid0(VALU_DEP_4) | instskip(SKIP_1) | instid1(VALU_DEP_2)
	v_dual_add_f32 v197, v197, v200 :: v_dual_mul_f32 v200, 0x3ee437d1, v99
	v_dual_mul_f32 v183, 0x3f3d2fb0, v101 :: v_dual_add_f32 v178, v185, v178
	v_dual_add_f32 v70, v70, v182 :: v_dual_add_f32 v169, v197, v169
	s_delay_alu instid0(VALU_DEP_2)
	v_dual_add_f32 v198, v198, v200 :: v_dual_add_f32 v183, v196, v183
	v_mul_f32_e32 v197, 0x3f3d2fb0, v75
	v_mul_f32_e32 v182, 0x3dbcf732, v110
	;; [unrolled: 1-line block ×4, first 2 shown]
	v_add_f32_e32 v179, v183, v179
	s_delay_alu instid0(VALU_DEP_4) | instskip(SKIP_1) | instid1(VALU_DEP_3)
	v_dual_mul_f32 v183, 0xbe8c1d8e, v109 :: v_dual_add_f32 v168, v168, v182
	v_mul_f32_e32 v182, 0x3f3d2fb0, v88
	v_dual_mul_f32 v200, 0x3f3d2fb0, v76 :: v_dual_add_f32 v179, v180, v179
	v_mul_f32_e32 v180, 0xbe8c1d8e, v75
	s_delay_alu instid0(VALU_DEP_4) | instskip(SKIP_3) | instid1(VALU_DEP_4)
	v_sub_f32_e32 v183, v183, v199
	v_mul_f32_e32 v199, 0xbf7ba420, v76
	v_mul_f32_e32 v185, 0xbf7ba420, v75
	v_dual_mul_f32 v75, 0xbf59a7d5, v75 :: v_dual_sub_f32 v182, v182, v190
	v_dual_add_f32 v178, v183, v178 :: v_dual_mul_f32 v183, 0xbe8c1d8e, v76
	s_delay_alu instid0(VALU_DEP_2) | instskip(SKIP_3) | instid1(VALU_DEP_4)
	v_dual_mul_f32 v76, 0x3f6eb680, v76 :: v_dual_sub_f32 v75, v75, v189
	v_mul_f32_e32 v187, 0xbe8c1d8e, v101
	v_dual_add_f32 v169, v198, v169 :: v_dual_mul_f32 v198, 0x3dbcf732, v88
	v_mul_f32_e32 v190, 0xbf1a4643, v96
	v_add_f32_e32 v70, v75, v70
	s_delay_alu instid0(VALU_DEP_4) | instskip(SKIP_2) | instid1(VALU_DEP_4)
	v_add_f32_e32 v159, v159, v187
	v_add_f32_e32 v75, v171, v212
	v_mul_f32_e32 v187, 0x3dbcf732, v89
	v_dual_mul_f32 v189, 0xbf7ba420, v88 :: v_dual_add_f32 v70, v182, v70
	s_delay_alu instid0(VALU_DEP_4)
	v_add_f32_e32 v159, v159, v169
	v_dual_mul_f32 v169, 0xbf7ba420, v89 :: v_dual_sub_f32 v190, v190, v192
	v_mul_f32_e32 v182, 0x3f6eb680, v89
	v_dual_add_f32 v75, v75, v5 :: v_dual_add_f32 v76, v173, v76
	v_mul_f32_e32 v173, 0x3ee437d1, v98
	v_mul_f32_e32 v171, 0xbe8c1d8e, v89
	;; [unrolled: 1-line block ×3, first 2 shown]
	s_delay_alu instid0(VALU_DEP_4) | instskip(NEXT) | instid1(VALU_DEP_4)
	v_add_f32_e32 v72, v72, v75
	v_dual_add_f32 v70, v190, v70 :: v_dual_sub_f32 v157, v173, v157
	v_mul_f32_e32 v173, 0xbe8c1d8e, v97
	v_dual_mul_f32 v192, 0x3ee437d1, v88 :: v_dual_mul_f32 v75, 0x3ee437d1, v89
	v_dual_mul_f32 v88, 0xbf59a7d5, v88 :: v_dual_mul_f32 v89, 0xbf59a7d5, v89
	v_add_f32_e32 v72, v76, v72
	v_dual_add_f32 v70, v157, v70 :: v_dual_mul_f32 v157, 0x3dbcf732, v97
	v_mul_f32_e32 v76, 0xbe8c1d8e, v100
	s_delay_alu instid0(VALU_DEP_4) | instskip(NEXT) | instid1(VALU_DEP_3)
	v_dual_mul_f32 v190, 0xbe8c1d8e, v96 :: v_dual_add_f32 v89, v174, v89
	v_dual_mul_f32 v174, 0xbf59a7d5, v96 :: v_dual_add_f32 v157, v175, v157
	s_delay_alu instid0(VALU_DEP_3) | instskip(NEXT) | instid1(VALU_DEP_3)
	v_dual_sub_f32 v76, v76, v160 :: v_dual_mul_f32 v175, 0x3f3d2fb0, v97
	v_add_f32_e32 v72, v89, v72
	v_mul_f32_e32 v89, 0x3f3d2fb0, v96
	v_mul_f32_e32 v160, 0xbf59a7d5, v97
	s_delay_alu instid0(VALU_DEP_4)
	v_add_f32_e32 v212, v76, v70
	v_sub_f32_e32 v70, v211, v161
	v_dual_mul_f32 v161, 0x3ee437d1, v97 :: v_dual_add_f32 v72, v157, v72
	v_mul_f32_e32 v97, 0xbf7ba420, v97
	v_mul_f32_e32 v76, 0x3f3d2fb0, v99
	v_sub_f32_e32 v157, v181, v163
	v_mul_f32_e32 v163, 0xbf7ba420, v96
	v_add_f32_e32 v70, v70, v4
	v_mul_f32_e32 v96, 0x3dbcf732, v96
	v_dual_add_f32 v76, v170, v76 :: v_dual_mul_f32 v181, 0xbf1a4643, v99
	v_dual_sub_f32 v164, v213, v164 :: v_dual_mul_f32 v211, 0xbe8c1d8e, v98
	s_delay_alu instid0(VALU_DEP_4) | instskip(NEXT) | instid1(VALU_DEP_3)
	v_dual_add_f32 v70, v157, v70 :: v_dual_mul_f32 v157, 0xbf7ba420, v101
	v_add_f32_e32 v72, v76, v72
	v_dual_sub_f32 v88, v88, v166 :: v_dual_add_f32 v75, v147, v75
	v_mul_f32_e32 v170, 0xbf1a4643, v98
	s_delay_alu instid0(VALU_DEP_4) | instskip(SKIP_4) | instid1(VALU_DEP_4)
	v_add_f32_e32 v76, v176, v157
	v_dual_mul_f32 v157, 0x3dbcf732, v109 :: v_dual_sub_f32 v96, v96, v167
	v_mul_f32_e32 v139, 0x3f6eb680, v110
	v_mul_f32_e32 v167, 0xbf59a7d5, v99
	;; [unrolled: 1-line block ×3, first 2 shown]
	v_dual_sub_f32 v156, v157, v156 :: v_dual_mul_f32 v157, 0x3f6eb680, v99
	v_add_f32_e32 v70, v164, v70
	v_mul_f32_e32 v164, 0xbe8c1d8e, v99
	v_dual_mul_f32 v99, 0x3dbcf732, v99 :: v_dual_add_f32 v72, v76, v72
	v_dual_mul_f32 v76, 0x3ee437d1, v110 :: v_dual_add_f32 v97, v149, v97
	v_mul_f32_e32 v166, 0x3f6eb680, v98
	v_dual_add_f32 v150, v150, v210 :: v_dual_mul_f32 v147, 0x3f6eb680, v109
	s_delay_alu instid0(VALU_DEP_3) | instskip(SKIP_4) | instid1(VALU_DEP_4)
	v_dual_add_f32 v76, v177, v76 :: v_dual_mul_f32 v177, 0xbf59a7d5, v101
	v_add_f32_e32 v70, v88, v70
	v_mul_f32_e32 v88, 0xbf59a7d5, v98
	v_dual_mul_f32 v98, 0x3f3d2fb0, v98 :: v_dual_mul_f32 v149, 0x3f3d2fb0, v109
	v_add_f32_e32 v150, v150, v5
	v_add_f32_e32 v70, v96, v70
	v_sub_f32_e32 v140, v197, v140
	s_delay_alu instid0(VALU_DEP_4) | instskip(SKIP_2) | instid1(VALU_DEP_3)
	v_dual_sub_f32 v98, v98, v162 :: v_dual_mul_f32 v197, 0xbf59a7d5, v109
	v_sub_f32_e32 v142, v192, v142
	v_mul_f32_e32 v192, 0xbf1a4643, v109
	v_dual_mul_f32 v109, 0x3ee437d1, v109 :: v_dual_add_f32 v98, v98, v70
	v_dual_add_f32 v70, v151, v150 :: v_dual_add_f32 v151, v152, v200
	v_add_f32_e32 v138, v140, v138
	v_mul_f32_e32 v162, 0xbf7ba420, v100
	v_mul_f32_e32 v210, 0x3ee437d1, v101
	;; [unrolled: 1-line block ×3, first 2 shown]
	v_add_f32_e32 v70, v151, v70
	v_mul_f32_e32 v200, 0xbf1a4643, v101
	v_mul_f32_e32 v101, 0x3f6eb680, v101
	v_dual_mul_f32 v151, 0xbf7ba420, v110 :: v_dual_add_f32 v72, v76, v72
	s_delay_alu instid0(VALU_DEP_4) | instskip(SKIP_2) | instid1(VALU_DEP_3)
	v_dual_add_f32 v75, v75, v70 :: v_dual_mul_f32 v96, 0xbf59a7d5, v100
	v_add_f32_e32 v76, v148, v99
	v_dual_sub_f32 v99, v163, v143 :: v_dual_mul_f32 v152, 0xbf1a4643, v100
	v_add_f32_e32 v75, v97, v75
	v_add_f32_e32 v97, v142, v138
	v_mul_f32_e32 v140, 0x3f3d2fb0, v110
	v_mul_f32_e32 v110, 0xbf1a4643, v110
	v_dual_add_f32 v112, v112, v206 :: v_dual_sub_f32 v105, v201, v105
	v_dual_add_f32 v75, v76, v75 :: v_dual_add_f32 v76, v146, v101
	v_dual_sub_f32 v162, v162, v165 :: v_dual_mul_f32 v165, 0x3dbcf732, v100
	v_dual_mul_f32 v100, 0x3f6eb680, v100 :: v_dual_sub_f32 v109, v109, v158
	v_add_f32_e32 v97, v99, v97
	v_sub_f32_e32 v99, v176, v141
	v_add_f32_e32 v101, v131, v5
	v_dual_add_f32 v131, v132, v191 :: v_dual_sub_f32 v104, v205, v104
	v_add_f32_e32 v87, v87, v186
	v_dual_add_f32 v75, v76, v75 :: v_dual_add_f32 v76, v155, v110
	v_add_f32_e32 v97, v99, v97
	s_delay_alu instid0(VALU_DEP_4) | instskip(SKIP_3) | instid1(VALU_DEP_4)
	v_dual_sub_f32 v99, v100, v144 :: v_dual_add_f32 v100, v131, v101
	v_dual_add_f32 v101, v134, v183 :: v_dual_sub_f32 v110, v207, v122
	v_add_f32_e32 v104, v104, v4
	v_add_f32_e32 v112, v112, v5
	v_dual_add_f32 v76, v76, v75 :: v_dual_add_f32 v75, v99, v97
	s_delay_alu instid0(VALU_DEP_4) | instskip(SKIP_1) | instid1(VALU_DEP_4)
	v_add_f32_e32 v97, v101, v100
	v_dual_add_f32 v99, v129, v182 :: v_dual_add_f32 v100, v110, v4
	v_dual_sub_f32 v101, v195, v123 :: v_dual_add_f32 v112, v113, v112
	v_add_f32_e32 v113, v114, v199
	s_delay_alu instid0(VALU_DEP_3) | instskip(SKIP_2) | instid1(VALU_DEP_4)
	v_add_f32_e32 v97, v99, v97
	v_dual_add_f32 v99, v127, v161 :: v_dual_sub_f32 v88, v88, v126
	v_add_f32_e32 v98, v162, v98
	v_dual_add_f32 v112, v113, v112 :: v_dual_add_f32 v113, v115, v171
	v_add_f32_e32 v100, v101, v100
	v_sub_f32_e32 v101, v180, v120
	v_add_f32_e32 v97, v99, v97
	v_add_f32_e32 v99, v128, v167
	v_add_f32_e32 v70, v168, v159
	v_sub_f32_e32 v82, v202, v82
	v_dual_add_f32 v100, v101, v100 :: v_dual_sub_f32 v101, v172, v121
	s_delay_alu instid0(VALU_DEP_4) | instskip(SKIP_2) | instid1(VALU_DEP_4)
	v_add_f32_e32 v97, v99, v97
	v_add_f32_e32 v99, v130, v200
	v_sub_f32_e32 v89, v89, v102
	v_dual_add_f32 v47, v82, v47 :: v_dual_add_f32 v100, v101, v100
	v_sub_f32_e32 v101, v215, v124
	s_delay_alu instid0(VALU_DEP_4) | instskip(SKIP_2) | instid1(VALU_DEP_4)
	v_add_f32_e32 v97, v99, v97
	v_add_f32_e32 v90, v90, v169
	v_dual_add_f32 v6, v6, v4 :: v_dual_add_f32 v73, v73, v210
	v_add_f32_e32 v99, v101, v100
	v_add_f32_e32 v100, v113, v112
	v_dual_add_f32 v101, v117, v175 :: v_dual_sub_f32 v112, v152, v125
	s_delay_alu instid0(VALU_DEP_4) | instskip(NEXT) | instid1(VALU_DEP_4)
	v_add_f32_e32 v6, v32, v6
	v_add_f32_e32 v99, v88, v99
	;; [unrolled: 1-line block ×3, first 2 shown]
	s_delay_alu instid0(VALU_DEP_4) | instskip(SKIP_1) | instid1(VALU_DEP_3)
	v_dual_add_f32 v100, v101, v100 :: v_dual_add_f32 v101, v116, v157
	v_sub_f32_e32 v110, v192, v145
	v_dual_add_f32 v6, v34, v6 :: v_dual_add_f32 v7, v35, v7
	v_sub_f32_e32 v32, v211, v69
	v_sub_f32_e32 v34, v193, v71
	s_delay_alu instid0(VALU_DEP_4) | instskip(NEXT) | instid1(VALU_DEP_4)
	v_dual_add_f32 v75, v110, v75 :: v_dual_add_f32 v110, v135, v140
	v_dual_add_f32 v28, v28, v6 :: v_dual_add_f32 v7, v29, v7
	s_delay_alu instid0(VALU_DEP_2)
	v_dual_add_f32 v71, v109, v98 :: v_dual_add_f32 v88, v110, v97
	v_add_f32_e32 v97, v112, v99
	v_dual_add_f32 v99, v101, v100 :: v_dual_add_f32 v100, v118, v150
	v_add_f32_e32 v101, v105, v104
	v_sub_f32_e32 v104, v185, v108
	v_dual_add_f32 v28, v30, v28 :: v_dual_add_f32 v7, v31, v7
	s_delay_alu instid0(VALU_DEP_4) | instskip(SKIP_1) | instid1(VALU_DEP_4)
	v_add_f32_e32 v99, v100, v99
	v_sub_f32_e32 v31, v136, v39
	v_add_f32_e32 v101, v104, v101
	s_delay_alu instid0(VALU_DEP_4)
	v_add_f32_e32 v24, v24, v28
	v_sub_f32_e32 v104, v214, v106
	v_add_f32_e32 v106, v91, v5
	v_add_f32_e32 v100, v119, v209
	v_dual_sub_f32 v30, v147, v74 :: v_dual_add_f32 v7, v25, v7
	v_dual_add_f32 v25, v42, v83 :: v_dual_add_f32 v4, v31, v4
	s_delay_alu instid0(VALU_DEP_4) | instskip(NEXT) | instid1(VALU_DEP_4)
	v_add_f32_e32 v93, v93, v106
	v_add_f32_e32 v91, v100, v99
	;; [unrolled: 1-line block ×3, first 2 shown]
	v_dual_sub_f32 v28, v81, v41 :: v_dual_add_f32 v7, v27, v7
	s_delay_alu instid0(VALU_DEP_4) | instskip(NEXT) | instid1(VALU_DEP_3)
	v_dual_add_f32 v87, v87, v93 :: v_dual_sub_f32 v82, v196, v84
	v_add_f32_e32 v89, v89, v99
	v_sub_f32_e32 v99, v166, v103
	s_delay_alu instid0(VALU_DEP_4) | instskip(SKIP_1) | instid1(VALU_DEP_3)
	v_dual_add_f32 v24, v26, v24 :: v_dual_add_f32 v7, v21, v7
	v_dual_add_f32 v4, v28, v4 :: v_dual_sub_f32 v21, v194, v43
	v_dual_add_f32 v84, v99, v89 :: v_dual_sub_f32 v89, v165, v107
	v_add_f32_e32 v87, v90, v87
	v_dual_add_f32 v47, v82, v47 :: v_dual_add_f32 v90, v92, v160
	v_sub_f32_e32 v82, v189, v85
	v_sub_f32_e32 v85, v197, v111
	v_dual_add_f32 v4, v21, v4 :: v_dual_sub_f32 v21, v198, v45
	s_delay_alu instid0(VALU_DEP_4) | instskip(NEXT) | instid1(VALU_DEP_4)
	v_dual_add_f32 v87, v90, v87 :: v_dual_add_f32 v84, v89, v84
	v_add_f32_e32 v47, v82, v47
	v_sub_f32_e32 v82, v174, v86
	v_add_f32_e32 v89, v94, v164
	s_delay_alu instid0(VALU_DEP_4) | instskip(NEXT) | instid1(VALU_DEP_3)
	v_dual_add_f32 v69, v95, v139 :: v_dual_add_f32 v90, v85, v84
	v_dual_add_f32 v4, v21, v4 :: v_dual_add_f32 v47, v82, v47
	s_delay_alu instid0(VALU_DEP_1) | instskip(NEXT) | instid1(VALU_DEP_4)
	v_dual_sub_f32 v105, v149, v133 :: v_dual_add_f32 v32, v32, v47
	v_add_f32_e32 v86, v89, v87
	s_delay_alu instid0(VALU_DEP_2) | instskip(NEXT) | instid1(VALU_DEP_3)
	v_add_f32_e32 v87, v105, v97
	v_add_f32_e32 v29, v34, v32
	s_delay_alu instid0(VALU_DEP_3) | instskip(NEXT) | instid1(VALU_DEP_1)
	v_dual_add_f32 v33, v73, v86 :: v_dual_add_f32 v32, v40, v137
	v_add_f32_e32 v6, v69, v33
	s_delay_alu instid0(VALU_DEP_2) | instskip(SKIP_1) | instid1(VALU_DEP_2)
	v_add_f32_e32 v5, v32, v5
	v_add_f32_e32 v69, v156, v212
	;; [unrolled: 1-line block ×5, first 2 shown]
	s_delay_alu instid0(VALU_DEP_2) | instskip(NEXT) | instid1(VALU_DEP_2)
	v_dual_add_f32 v24, v46, v187 :: v_dual_add_f32 v5, v25, v5
	v_dual_add_f32 v7, v23, v7 :: v_dual_add_f32 v20, v22, v20
	s_delay_alu instid0(VALU_DEP_2) | instskip(NEXT) | instid1(VALU_DEP_2)
	v_add_f32_e32 v5, v24, v5
	v_dual_add_f32 v7, v9, v7 :: v_dual_add_f32 v8, v8, v20
	s_delay_alu instid0(VALU_DEP_1) | instskip(NEXT) | instid1(VALU_DEP_1)
	v_dual_sub_f32 v20, v190, v61 :: v_dual_add_f32 v7, v11, v7
	v_dual_add_f32 v9, v62, v173 :: v_dual_add_f32 v4, v20, v4
	s_delay_alu instid0(VALU_DEP_3) | instskip(NEXT) | instid1(VALU_DEP_2)
	v_add_f32_e32 v8, v10, v8
	v_dual_sub_f32 v10, v170, v63 :: v_dual_add_f32 v5, v9, v5
	v_add_f32_e32 v9, v64, v181
	s_delay_alu instid0(VALU_DEP_3) | instskip(NEXT) | instid1(VALU_DEP_3)
	v_dual_add_f32 v7, v13, v7 :: v_dual_add_f32 v8, v12, v8
	v_add_f32_e32 v4, v10, v4
	v_and_b32_e32 v13, 0xffff, v80
	s_delay_alu instid0(VALU_DEP_4) | instskip(NEXT) | instid1(VALU_DEP_4)
	v_add_f32_e32 v5, v9, v5
	v_dual_add_f32 v7, v15, v7 :: v_dual_add_f32 v8, v14, v8
	v_add_f32_e32 v9, v66, v177
	s_delay_alu instid0(VALU_DEP_2) | instskip(NEXT) | instid1(VALU_DEP_2)
	v_dual_sub_f32 v10, v96, v65 :: v_dual_add_f32 v7, v17, v7
	v_dual_add_f32 v8, v16, v8 :: v_dual_add_f32 v5, v9, v5
	s_delay_alu instid0(VALU_DEP_2) | instskip(SKIP_1) | instid1(VALU_DEP_3)
	v_dual_add_f32 v4, v10, v4 :: v_dual_add_f32 v9, v68, v151
	v_sub_f32_e32 v10, v188, v67
	v_dual_add_f32 v11, v19, v7 :: v_dual_add_f32 v12, v18, v8
	s_delay_alu instid0(VALU_DEP_2) | instskip(NEXT) | instid1(VALU_DEP_2)
	v_dual_add_f32 v8, v9, v5 :: v_dual_add_f32 v7, v10, v4
	v_dual_add_f32 v10, v37, v11 :: v_dual_add_f32 v9, v36, v12
	v_add_lshl_u32 v4, v38, v13, 3
	v_add_f32_e32 v5, v30, v29
	ds_store_2addr_b64 v4, v[9:10], v[7:8] offset1:1
	ds_store_2addr_b64 v4, v[5:6], v[90:91] offset0:2 offset1:3
	ds_store_2addr_b64 v4, v[87:88], v[75:76] offset0:4 offset1:5
	;; [unrolled: 1-line block ×7, first 2 shown]
	ds_store_b64 v4, v[2:3] offset:128
.LBB0_7:
	s_wait_alu 0xfffe
	s_or_b32 exec_lo, exec_lo, s0
	v_and_b32_e32 v4, 0xff, v78
	v_add_nc_u16 v5, v78, 51
	v_add_nc_u16 v6, v78, 0x66
	s_load_b128 s[0:3], s[2:3], 0x0
	global_wb scope:SCOPE_SE
	s_wait_dscnt 0x0
	v_mul_lo_u16 v4, 0xf1, v4
	v_and_b32_e32 v7, 0xff, v5
	s_wait_kmcnt 0x0
	s_barrier_signal -1
	s_barrier_wait -1
	global_inv scope:SCOPE_SE
	v_lshrrev_b16 v24, 12, v4
	v_and_b32_e32 v4, 0xff, v6
	v_mul_lo_u16 v7, 0xf1, v7
	v_add_lshl_u32 v82, v38, v78, 3
	v_lshl_add_u32 v81, v78, 3, v79
	v_mul_lo_u16 v8, v24, 17
	v_mul_lo_u16 v4, 0xf1, v4
	v_lshrrev_b16 v25, 12, v7
	v_lshl_add_u32 v83, v78, 3, v79
	s_delay_alu instid0(VALU_DEP_4) | instskip(NEXT) | instid1(VALU_DEP_4)
	v_sub_nc_u16 v26, v78, v8
	v_lshrrev_b16 v27, 12, v4
	s_delay_alu instid0(VALU_DEP_4) | instskip(NEXT) | instid1(VALU_DEP_3)
	v_mul_lo_u16 v4, v25, 17
	v_lshlrev_b16 v7, 1, v26
	s_delay_alu instid0(VALU_DEP_3) | instskip(NEXT) | instid1(VALU_DEP_3)
	v_mul_lo_u16 v8, v27, 17
	v_sub_nc_u16 v4, v5, v4
	v_mad_u16 v28, v24, 51, v26
	s_delay_alu instid0(VALU_DEP_4) | instskip(NEXT) | instid1(VALU_DEP_4)
	v_and_b32_e32 v5, 0xfe, v7
	v_sub_nc_u16 v6, v6, v8
	s_delay_alu instid0(VALU_DEP_4) | instskip(NEXT) | instid1(VALU_DEP_3)
	v_and_b32_e32 v34, 0xff, v4
	v_lshlrev_b32_e32 v4, 3, v5
	s_delay_alu instid0(VALU_DEP_3) | instskip(NEXT) | instid1(VALU_DEP_3)
	v_and_b32_e32 v35, 0xff, v6
	v_lshlrev_b32_e32 v8, 4, v34
	global_load_b128 v[4:7], v4, s[4:5]
	v_lshlrev_b32_e32 v12, 4, v35
	s_clause 0x1
	global_load_b128 v[8:11], v8, s[4:5]
	global_load_b128 v[12:15], v12, s[4:5]
	v_add_nc_u32_e32 v46, 0x800, v82
	v_and_b32_e32 v30, 0xffff, v27
	ds_load_2addr_b64 v[16:19], v82 offset0:102 offset1:153
	ds_load_2addr_b64 v[20:23], v46 offset0:50 offset1:101
	v_and_b32_e32 v29, 0xffff, v25
	ds_load_2addr_b64 v[24:27], v82 offset0:204 offset1:255
	v_and_b32_e32 v37, 0xff, v28
	v_mul_u32_u24_e32 v40, 51, v30
	v_mul_u32_u24_e32 v39, 51, v29
	ds_load_2addr_b64 v[28:31], v82 offset1:51
	ds_load_b64 v[32:33], v82 offset:3264
	v_lshlrev_b32_e32 v36, 6, v78
	global_wb scope:SCOPE_SE
	s_wait_loadcnt_dscnt 0x0
	s_barrier_signal -1
	v_add_nc_u32_e32 v34, v39, v34
	s_barrier_wait -1
	global_inv scope:SCOPE_SE
	v_add_lshl_u32 v85, v38, v34, 3
	v_dual_mul_f32 v34, v19, v5 :: v_dual_add_nc_u32 v35, v40, v35
	v_mul_f32_e32 v39, v25, v9
	v_mul_f32_e32 v44, v26, v13
	v_add_lshl_u32 v86, v38, v37, 3
	s_delay_alu instid0(VALU_DEP_4)
	v_add_lshl_u32 v84, v38, v35, 3
	v_mul_f32_e32 v35, v18, v5
	v_mul_f32_e32 v37, v21, v7
	;; [unrolled: 1-line block ×3, first 2 shown]
	v_dual_mul_f32 v40, v24, v9 :: v_dual_mul_f32 v41, v23, v11
	v_dual_mul_f32 v42, v22, v11 :: v_dual_mul_f32 v43, v27, v13
	s_delay_alu instid0(VALU_DEP_3)
	v_fmac_f32_e32 v38, v21, v6
	v_mul_f32_e32 v45, v33, v15
	v_mul_f32_e32 v47, v32, v15
	v_fma_f32 v18, v18, v4, -v34
	v_fmac_f32_e32 v35, v19, v4
	v_fma_f32 v19, v20, v6, -v37
	v_fma_f32 v20, v24, v8, -v39
	v_fmac_f32_e32 v40, v25, v8
	v_fma_f32 v22, v22, v10, -v41
	v_fmac_f32_e32 v42, v23, v10
	;; [unrolled: 2-line block ×4, first 2 shown]
	v_dual_add_f32 v25, v18, v19 :: v_dual_add_f32 v32, v35, v38
	v_add_f32_e32 v43, v16, v21
	v_add_f32_e32 v23, v28, v18
	v_dual_sub_f32 v27, v35, v38 :: v_dual_add_f32 v26, v29, v35
	v_sub_f32_e32 v33, v18, v19
	v_dual_add_f32 v34, v30, v20 :: v_dual_sub_f32 v37, v40, v42
	v_add_f32_e32 v35, v20, v22
	v_dual_add_f32 v39, v31, v40 :: v_dual_add_f32 v40, v40, v42
	v_dual_sub_f32 v41, v20, v22 :: v_dual_add_f32 v62, v17, v44
	v_add_f32_e32 v45, v21, v24
	v_dual_sub_f32 v61, v44, v47 :: v_dual_add_f32 v22, v34, v22
	v_dual_add_f32 v44, v44, v47 :: v_dual_sub_f32 v63, v21, v24
	v_add_f32_e32 v18, v23, v19
	v_fma_f32 v20, -0.5, v25, v28
	v_fma_f32 v21, -0.5, v32, v29
	;; [unrolled: 1-line block ×3, first 2 shown]
	v_fmac_f32_e32 v31, -0.5, v40
	v_fma_f32 v16, -0.5, v45, v16
	v_fmac_f32_e32 v17, -0.5, v44
	v_dual_add_f32 v19, v26, v38 :: v_dual_add_f32 v24, v43, v24
	v_add_f32_e32 v23, v39, v42
	v_fmamk_f32 v26, v27, 0x3f5db3d7, v20
	v_dual_fmac_f32 v20, 0xbf5db3d7, v27 :: v_dual_fmamk_f32 v27, v33, 0xbf5db3d7, v21
	v_dual_fmac_f32 v21, 0x3f5db3d7, v33 :: v_dual_fmamk_f32 v32, v61, 0x3f5db3d7, v16
	v_dual_add_f32 v25, v62, v47 :: v_dual_fmamk_f32 v28, v37, 0x3f5db3d7, v30
	v_dual_fmamk_f32 v29, v41, 0xbf5db3d7, v31 :: v_dual_fmac_f32 v30, 0xbf5db3d7, v37
	v_fmac_f32_e32 v31, 0x3f5db3d7, v41
	v_dual_fmac_f32 v16, 0xbf5db3d7, v61 :: v_dual_fmamk_f32 v33, v63, 0xbf5db3d7, v17
	v_fmac_f32_e32 v17, 0x3f5db3d7, v63
	ds_store_2addr_b64 v86, v[18:19], v[26:27] offset1:17
	ds_store_b64 v86, v[20:21] offset:272
	ds_store_2addr_b64 v85, v[22:23], v[28:29] offset1:17
	ds_store_b64 v85, v[30:31] offset:272
	;; [unrolled: 2-line block ×3, first 2 shown]
	global_wb scope:SCOPE_SE
	s_wait_dscnt 0x0
	s_barrier_signal -1
	s_barrier_wait -1
	global_inv scope:SCOPE_SE
	s_clause 0x3
	global_load_b128 v[28:31], v36, s[4:5] offset:272
	global_load_b128 v[24:27], v36, s[4:5] offset:288
	;; [unrolled: 1-line block ×4, first 2 shown]
	ds_load_2addr_b64 v[34:37], v82 offset1:51
	ds_load_2addr_b64 v[38:41], v82 offset0:102 offset1:153
	ds_load_2addr_b64 v[42:45], v82 offset0:204 offset1:255
	ds_load_2addr_b64 v[65:68], v46 offset0:50 offset1:101
	ds_load_b64 v[32:33], v82 offset:3264
	v_add_nc_u32_e32 v63, 0x400, v81
	s_wait_loadcnt_dscnt 0x303
	v_dual_mul_f32 v61, v39, v31 :: v_dual_add_nc_u32 v64, 0x800, v81
	v_mul_f32_e32 v46, v37, v29
	v_dual_mul_f32 v62, v38, v31 :: v_dual_mul_f32 v47, v36, v29
	s_wait_loadcnt_dscnt 0x0
	v_dual_mul_f32 v69, v41, v25 :: v_dual_mul_f32 v90, v32, v19
	v_dual_mul_f32 v75, v66, v23 :: v_dual_mul_f32 v88, v67, v17
	;; [unrolled: 1-line block ×6, first 2 shown]
	s_delay_alu instid0(VALU_DEP_4) | instskip(SKIP_2) | instid1(VALU_DEP_4)
	v_fmac_f32_e32 v70, v41, v24
	v_fma_f32 v36, v36, v28, -v46
	v_dual_fmac_f32 v62, v39, v30 :: v_dual_fmac_f32 v47, v37, v28
	v_fmac_f32_e32 v76, v66, v22
	v_fmac_f32_e32 v88, v68, v16
	v_fma_f32 v32, v32, v18, -v89
	v_fmac_f32_e32 v90, v33, v18
	v_fma_f32 v37, v38, v30, -v61
	v_fma_f32 v38, v40, v24, -v69
	;; [unrolled: 1-line block ×3, first 2 shown]
	v_fmac_f32_e32 v72, v43, v26
	v_fma_f32 v40, v44, v20, -v73
	v_fmac_f32_e32 v74, v45, v20
	v_fma_f32 v41, v65, v22, -v75
	v_fma_f32 v33, v67, v16, -v87
	v_add_f32_e32 v45, v62, v88
	v_dual_add_f32 v43, v47, v90 :: v_dual_add_f32 v42, v36, v32
	v_dual_sub_f32 v47, v47, v90 :: v_dual_sub_f32 v36, v36, v32
	s_delay_alu instid0(VALU_DEP_4)
	v_dual_add_f32 v44, v37, v33 :: v_dual_add_f32 v61, v70, v76
	v_dual_add_f32 v46, v38, v41 :: v_dual_sub_f32 v65, v39, v40
	v_dual_sub_f32 v37, v37, v33 :: v_dual_sub_f32 v62, v62, v88
	v_dual_fmamk_f32 v73, v43, 0x3f441b7d, v35 :: v_dual_sub_f32 v38, v38, v41
	v_add_f32_e32 v67, v39, v40
	v_dual_sub_f32 v41, v70, v76 :: v_dual_sub_f32 v66, v72, v74
	v_dual_add_f32 v68, v72, v74 :: v_dual_mul_f32 v69, 0x3f248dbb, v36
	v_dual_mul_f32 v70, 0x3f248dbb, v47 :: v_dual_add_f32 v89, v65, v36
	s_delay_alu instid0(VALU_DEP_2) | instskip(NEXT) | instid1(VALU_DEP_4)
	v_dual_fmamk_f32 v71, v42, 0x3f441b7d, v34 :: v_dual_fmamk_f32 v88, v68, 0x3f441b7d, v35
	v_dual_mul_f32 v75, 0xbf248dbb, v65 :: v_dual_mul_f32 v76, 0xbf248dbb, v66
	v_dual_fmamk_f32 v87, v67, 0x3f441b7d, v34 :: v_dual_add_f32 v90, v66, v47
	v_dual_add_f32 v91, v44, v42 :: v_dual_add_f32 v92, v45, v43
	v_dual_mul_f32 v93, 0x3f7c1c5c, v65 :: v_dual_mul_f32 v94, 0x3f7c1c5c, v66
	v_dual_fmamk_f32 v95, v44, 0x3f441b7d, v34 :: v_dual_fmamk_f32 v96, v45, 0x3f441b7d, v35
	v_dual_fmac_f32 v69, 0x3f7c1c5c, v37 :: v_dual_fmac_f32 v70, 0x3f7c1c5c, v62
	v_dual_fmac_f32 v71, 0x3e31d0d4, v44 :: v_dual_fmac_f32 v88, 0x3e31d0d4, v43
	v_dual_add_f32 v32, v46, v34 :: v_dual_add_f32 v33, v61, v35
	v_dual_fmac_f32 v73, 0x3e31d0d4, v45 :: v_dual_sub_f32 v90, v90, v62
	v_dual_fmac_f32 v75, 0x3f7c1c5c, v36 :: v_dual_fmac_f32 v76, 0x3f7c1c5c, v47
	v_dual_fmac_f32 v87, 0x3e31d0d4, v42 :: v_dual_add_f32 v98, v68, v92
	v_dual_sub_f32 v89, v89, v37 :: v_dual_fmac_f32 v96, 0x3e31d0d4, v68
	v_dual_add_f32 v97, v67, v91 :: v_dual_add_f32 v92, v61, v92
	v_fma_f32 v93, 0xbf248dbb, v37, -v93
	v_fma_f32 v94, 0xbf248dbb, v62, -v94
	v_dual_add_f32 v91, v46, v91 :: v_dual_fmac_f32 v70, 0x3f5db3d7, v41
	v_dual_fmac_f32 v95, 0x3e31d0d4, v67 :: v_dual_fmac_f32 v88, -0.5, v61
	v_dual_fmac_f32 v69, 0x3f5db3d7, v38 :: v_dual_fmac_f32 v32, -0.5, v97
	v_dual_fmac_f32 v71, -0.5, v46 :: v_dual_fmac_f32 v76, 0xbf5db3d7, v41
	v_dual_fmac_f32 v73, -0.5, v61 :: v_dual_mul_f32 v100, 0x3f5db3d7, v90
	v_fmac_f32_e32 v75, 0xbf5db3d7, v38
	v_dual_fmac_f32 v87, -0.5, v46 :: v_dual_fmac_f32 v94, 0x3f5db3d7, v41
	v_dual_fmac_f32 v33, -0.5, v98 :: v_dual_fmac_f32 v96, -0.5, v61
	v_dual_fmac_f32 v95, -0.5, v46 :: v_dual_fmac_f32 v88, 0xbf708fb2, v45
	v_dual_fmac_f32 v69, 0x3eaf1d44, v65 :: v_dual_fmac_f32 v70, 0x3eaf1d44, v66
	v_fmac_f32_e32 v71, 0xbf708fb2, v67
	v_dual_fmac_f32 v93, 0x3f5db3d7, v38 :: v_dual_add_f32 v38, v39, v91
	v_dual_add_f32 v39, v72, v92 :: v_dual_fmac_f32 v76, 0x3eaf1d44, v62
	v_dual_fmac_f32 v73, 0xbf708fb2, v68 :: v_dual_fmac_f32 v96, 0xbf708fb2, v43
	v_dual_fmac_f32 v75, 0x3eaf1d44, v37 :: v_dual_fmac_f32 v94, 0x3eaf1d44, v47
	s_delay_alu instid0(VALU_DEP_3)
	v_add_f32_e32 v37, v74, v39
	v_fmac_f32_e32 v87, 0xbf708fb2, v44
	v_dual_fmac_f32 v95, 0xbf708fb2, v42 :: v_dual_add_f32 v44, v70, v71
	v_dual_fmac_f32 v93, 0x3eaf1d44, v36 :: v_dual_add_f32 v36, v40, v38
	v_dual_mul_f32 v99, 0x3f5db3d7, v89 :: v_dual_fmac_f32 v32, 0x3f5db3d7, v90
	v_sub_f32_e32 v45, v73, v69
	v_sub_f32_e32 v47, v88, v75
	s_delay_alu instid0(VALU_DEP_4) | instskip(SKIP_3) | instid1(VALU_DEP_3)
	v_dual_add_f32 v61, v36, v34 :: v_dual_add_f32 v62, v37, v35
	v_dual_fmac_f32 v33, 0xbf5db3d7, v89 :: v_dual_add_f32 v46, v76, v87
	v_dual_add_f32 v34, v94, v95 :: v_dual_sub_f32 v35, v96, v93
	v_fma_f32 v42, -2.0, v100, v32
	v_fma_f32 v43, 2.0, v99, v33
	v_fma_f32 v38, -2.0, v70, v44
	v_fma_f32 v39, 2.0, v69, v45
	v_fma_f32 v36, -2.0, v76, v46
	v_fma_f32 v40, -2.0, v94, v34
	v_fma_f32 v41, 2.0, v93, v35
	v_fma_f32 v37, 2.0, v75, v47
	ds_store_b64 v83, v[61:62]
	ds_store_2addr_b64 v81, v[44:45], v[46:47] offset0:51 offset1:102
	ds_store_2addr_b64 v81, v[32:33], v[34:35] offset0:153 offset1:204
	;; [unrolled: 1-line block ×4, first 2 shown]
	global_wb scope:SCOPE_SE
	s_wait_dscnt 0x0
	s_barrier_signal -1
	s_barrier_wait -1
	global_inv scope:SCOPE_SE
	s_and_saveexec_b32 s6, vcc_lo
	s_cbranch_execz .LBB0_9
; %bb.8:
	global_load_b64 v[65:66], v77, s[8:9] offset:3672
	s_add_nc_u64 s[4:5], s[8:9], 0xe58
	s_clause 0xf
	global_load_b64 v[107:108], v77, s[4:5] offset:216
	global_load_b64 v[109:110], v77, s[4:5] offset:432
	;; [unrolled: 1-line block ×16, first 2 shown]
	ds_load_b64 v[67:68], v83
	s_wait_loadcnt_dscnt 0x1000
	v_mul_f32_e32 v69, v68, v66
	v_mul_f32_e32 v70, v67, v66
	s_delay_alu instid0(VALU_DEP_2) | instskip(NEXT) | instid1(VALU_DEP_2)
	v_fma_f32 v69, v67, v65, -v69
	v_fmac_f32_e32 v70, v68, v65
	ds_store_b64 v83, v[69:70]
	ds_load_2addr_b64 v[65:68], v81 offset0:27 offset1:54
	ds_load_2addr_b64 v[69:72], v81 offset0:81 offset1:108
	;; [unrolled: 1-line block ×8, first 2 shown]
	s_wait_loadcnt_dscnt 0xf07
	v_mul_f32_e32 v140, v66, v108
	v_mul_f32_e32 v139, v65, v108
	s_wait_loadcnt_dscnt 0xd06
	v_dual_mul_f32 v141, v68, v110 :: v_dual_mul_f32 v142, v70, v112
	v_mul_f32_e32 v108, v67, v110
	s_wait_loadcnt 0xc
	v_dual_mul_f32 v110, v69, v112 :: v_dual_mul_f32 v143, v72, v114
	v_mul_f32_e32 v112, v71, v114
	s_wait_loadcnt_dscnt 0xa05
	v_dual_mul_f32 v144, v74, v116 :: v_dual_mul_f32 v145, v76, v118
	s_wait_loadcnt_dscnt 0x603
	v_dual_mul_f32 v114, v73, v116 :: v_dual_mul_f32 v149, v94, v126
	v_mul_f32_e32 v116, v75, v118
	s_wait_loadcnt_dscnt 0x402
	v_dual_mul_f32 v146, v88, v120 :: v_dual_mul_f32 v151, v98, v130
	s_wait_loadcnt_dscnt 0x201
	v_dual_mul_f32 v118, v87, v120 :: v_dual_mul_f32 v153, v102, v134
	v_mul_f32_e32 v147, v90, v122
	v_mul_f32_e32 v120, v89, v122
	s_wait_loadcnt_dscnt 0x0
	v_dual_mul_f32 v148, v92, v124 :: v_dual_mul_f32 v155, v106, v138
	v_mul_f32_e32 v122, v91, v124
	v_mul_f32_e32 v124, v93, v126
	;; [unrolled: 1-line block ×11, first 2 shown]
	v_fma_f32 v138, v65, v107, -v140
	v_fmac_f32_e32 v139, v66, v107
	v_fma_f32 v107, v67, v109, -v141
	v_fmac_f32_e32 v108, v68, v109
	;; [unrolled: 2-line block ×16, first 2 shown]
	ds_store_2addr_b64 v81, v[138:139], v[107:108] offset0:27 offset1:54
	ds_store_2addr_b64 v81, v[109:110], v[111:112] offset0:81 offset1:108
	;; [unrolled: 1-line block ×8, first 2 shown]
.LBB0_9:
	s_wait_alu 0xfffe
	s_or_b32 exec_lo, exec_lo, s6
	global_wb scope:SCOPE_SE
	s_wait_dscnt 0x0
	s_barrier_signal -1
	s_barrier_wait -1
	global_inv scope:SCOPE_SE
	s_and_saveexec_b32 s4, vcc_lo
	s_cbranch_execz .LBB0_11
; %bb.10:
	v_add_nc_u32_e32 v0, 0x400, v83
	v_add_nc_u32_e32 v1, 0x800, v83
	ds_load_2addr_b64 v[49:52], v0 offset0:115 offset1:142
	ds_load_2addr_b64 v[63:66], v1 offset0:41 offset1:68
	;; [unrolled: 1-line block ×4, first 2 shown]
	ds_load_b64 v[61:62], v83
	ds_load_2addr_b64 v[44:47], v83 offset0:27 offset1:54
	ds_load_2addr_b64 v[32:35], v83 offset0:81 offset1:108
	;; [unrolled: 1-line block ×4, first 2 shown]
	s_wait_dscnt 0x8
	v_dual_mov_b32 v60, v50 :: v_dual_mov_b32 v59, v49
	v_dual_mov_b32 v57, v51 :: v_dual_mov_b32 v58, v52
	s_wait_dscnt 0x7
	v_dual_mov_b32 v55, v63 :: v_dual_mov_b32 v56, v64
	v_dual_mov_b32 v53, v65 :: v_dual_mov_b32 v54, v66
	s_wait_dscnt 0x6
	v_dual_mov_b32 v51, v67 :: v_dual_mov_b32 v52, v68
	v_dual_mov_b32 v49, v69 :: v_dual_mov_b32 v50, v70
.LBB0_11:
	s_wait_alu 0xfffe
	s_or_b32 exec_lo, exec_lo, s4
	global_wb scope:SCOPE_SE
	s_wait_dscnt 0x0
	s_barrier_signal -1
	s_barrier_wait -1
	global_inv scope:SCOPE_SE
	s_and_saveexec_b32 s4, vcc_lo
	s_cbranch_execz .LBB0_13
; %bb.12:
	v_dual_add_f32 v76, v3, v45 :: v_dual_add_f32 v199, v52, v35
	v_dual_sub_f32 v92, v44, v2 :: v_dual_sub_f32 v87, v34, v51
	v_dual_add_f32 v206, v1, v47 :: v_dual_sub_f32 v89, v32, v49
	v_dual_add_f32 v204, v50, v33 :: v_dual_add_f32 v75, v56, v43
	s_delay_alu instid0(VALU_DEP_4) | instskip(SKIP_1) | instid1(VALU_DEP_4)
	v_mul_f32_e32 v106, 0xbf7ba420, v76
	v_sub_f32_e32 v88, v46, v0
	v_dual_mul_f32 v108, 0x3f6eb680, v206 :: v_dual_sub_f32 v91, v42, v55
	s_delay_alu instid0(VALU_DEP_4) | instskip(NEXT) | instid1(VALU_DEP_4)
	v_dual_add_f32 v200, v54, v41 :: v_dual_mul_f32 v109, 0xbf59a7d5, v204
	v_fmamk_f32 v63, v92, 0x3e3c28d5, v106
	v_sub_f32_e32 v90, v40, v53
	v_dual_mul_f32 v110, 0x3f3d2fb0, v199 :: v_dual_sub_f32 v167, v47, v1
	s_delay_alu instid0(VALU_DEP_4) | instskip(NEXT) | instid1(VALU_DEP_4)
	v_fmamk_f32 v65, v89, 0x3f06c442, v109
	v_dual_fmamk_f32 v64, v88, 0xbeb8f4ab, v108 :: v_dual_add_f32 v63, v62, v63
	v_dual_sub_f32 v166, v45, v3 :: v_dual_mul_f32 v115, 0xbf1a4643, v200
	v_dual_add_f32 v94, v2, v44 :: v_dual_add_f32 v95, v0, v46
	s_delay_alu instid0(VALU_DEP_3) | instskip(SKIP_2) | instid1(VALU_DEP_3)
	v_dual_add_f32 v63, v64, v63 :: v_dual_fmamk_f32 v64, v87, 0xbf2c7751, v110
	v_dual_mul_f32 v112, 0x3ee437d1, v75 :: v_dual_add_f32 v189, v58, v37
	v_dual_mul_f32 v113, 0x3eb8f4ab, v167 :: v_dual_sub_f32 v186, v35, v52
	v_dual_add_f32 v63, v65, v63 :: v_dual_mul_f32 v114, 0xbe3c28d5, v166
	v_sub_f32_e32 v179, v33, v50
	v_dual_add_f32 v97, v49, v32 :: v_dual_add_f32 v98, v51, v34
	s_delay_alu instid0(VALU_DEP_3) | instskip(SKIP_2) | instid1(VALU_DEP_3)
	v_dual_add_f32 v63, v64, v63 :: v_dual_fmamk_f32 v66, v94, 0xbf7ba420, v114
	v_dual_fmamk_f32 v65, v90, 0x3f4c4adb, v115 :: v_dual_add_f32 v192, v60, v39
	v_dual_mul_f32 v111, 0xbe8c1d8e, v189 :: v_dual_sub_f32 v96, v38, v59
	v_add_f32_e32 v66, v61, v66
	s_delay_alu instid0(VALU_DEP_3) | instskip(SKIP_3) | instid1(VALU_DEP_3)
	v_dual_fmamk_f32 v64, v91, 0xbf65296c, v112 :: v_dual_add_f32 v63, v65, v63
	v_fmamk_f32 v65, v95, 0x3f6eb680, v113
	v_dual_sub_f32 v187, v41, v54 :: v_dual_mul_f32 v118, 0x3dbcf732, v192
	v_sub_f32_e32 v93, v36, v57
	v_dual_add_f32 v63, v64, v63 :: v_dual_add_f32 v64, v65, v66
	v_dual_mul_f32 v107, 0xbf06c442, v179 :: v_dual_add_f32 v100, v55, v42
	s_delay_alu instid0(VALU_DEP_4) | instskip(NEXT) | instid1(VALU_DEP_4)
	v_dual_add_f32 v99, v53, v40 :: v_dual_mul_f32 v104, 0xbf4c4adb, v187
	v_dual_fmamk_f32 v66, v93, 0x3f763a35, v111 :: v_dual_sub_f32 v183, v43, v56
	s_delay_alu instid0(VALU_DEP_3) | instskip(SKIP_1) | instid1(VALU_DEP_3)
	v_fmamk_f32 v65, v97, 0xbf59a7d5, v107
	v_dual_mul_f32 v133, 0xbf59a7d5, v76 :: v_dual_sub_f32 v190, v37, v58
	v_add_f32_e32 v63, v66, v63
	s_delay_alu instid0(VALU_DEP_4) | instskip(NEXT) | instid1(VALU_DEP_4)
	v_dual_mul_f32 v105, 0x3f65296c, v183 :: v_dual_add_f32 v102, v57, v36
	v_dual_add_f32 v64, v65, v64 :: v_dual_mul_f32 v103, 0x3f2c7751, v186
	v_fmamk_f32 v66, v96, 0xbf7ee86f, v118
	v_fmamk_f32 v68, v92, 0x3f06c442, v133
	v_mul_f32_e32 v123, 0x3dbcf732, v200
	v_mul_f32_e32 v138, 0x3f65296c, v167
	v_fmamk_f32 v65, v98, 0x3f3d2fb0, v103
	v_fmamk_f32 v67, v100, 0x3ee437d1, v105
	s_delay_alu instid0(VALU_DEP_4) | instskip(NEXT) | instid1(VALU_DEP_3)
	v_dual_mul_f32 v139, 0xbf7ee86f, v179 :: v_dual_fmamk_f32 v70, v90, 0xbf7ee86f, v123
	v_dual_mul_f32 v119, 0x3ee437d1, v206 :: v_dual_add_f32 v64, v65, v64
	v_fmamk_f32 v65, v99, 0xbf1a4643, v104
	v_mul_f32_e32 v120, 0x3dbcf732, v204
	v_dual_mul_f32 v116, 0xbf763a35, v190 :: v_dual_sub_f32 v191, v39, v60
	s_delay_alu instid0(VALU_DEP_3)
	v_dual_mul_f32 v124, 0xbf1a4643, v199 :: v_dual_add_f32 v65, v65, v64
	v_add_f32_e32 v64, v66, v63
	v_fmamk_f32 v66, v88, 0xbf65296c, v119
	v_mul_f32_e32 v158, 0xbeb8f4ab, v187
	v_mul_f32_e32 v125, 0x3f6eb680, v200
	v_add_f32_e32 v63, v67, v65
	v_add_f32_e32 v65, v62, v68
	v_dual_fmamk_f32 v67, v102, 0xbe8c1d8e, v116 :: v_dual_mul_f32 v132, 0xbe8c1d8e, v206
	v_add_f32_e32 v101, v59, v38
	v_mul_f32_e32 v137, 0xbf06c442, v166
	s_delay_alu instid0(VALU_DEP_4) | instskip(SKIP_3) | instid1(VALU_DEP_4)
	v_dual_add_f32 v65, v66, v65 :: v_dual_fmamk_f32 v66, v89, 0x3f7ee86f, v120
	v_mul_f32_e32 v117, 0x3f7ee86f, v191
	v_dual_add_f32 v63, v67, v63 :: v_dual_mul_f32 v126, 0x3f3d2fb0, v189
	v_dual_mul_f32 v159, 0xbe3c28d5, v183 :: v_dual_mul_f32 v154, 0xbe3c28d5, v190
	v_dual_add_f32 v65, v66, v65 :: v_dual_fmamk_f32 v66, v87, 0xbf4c4adb, v124
	v_mul_f32_e32 v131, 0xbf7ba420, v75
	v_mul_f32_e32 v152, 0x3f7ee86f, v187
	;; [unrolled: 1-line block ×3, first 2 shown]
	s_delay_alu instid0(VALU_DEP_4) | instskip(SKIP_4) | instid1(VALU_DEP_4)
	v_dual_mul_f32 v142, 0x3f4c4adb, v186 :: v_dual_add_f32 v65, v66, v65
	v_fmamk_f32 v66, v90, 0x3eb8f4ab, v125
	v_fmamk_f32 v67, v101, 0x3dbcf732, v117
	v_mul_f32_e32 v135, 0xbf1a4643, v76
	v_mul_f32_e32 v147, 0x3f2c7751, v190
	v_dual_mul_f32 v168, 0x3ee437d1, v200 :: v_dual_add_f32 v65, v66, v65
	s_delay_alu instid0(VALU_DEP_4) | instskip(SKIP_2) | instid1(VALU_DEP_4)
	v_add_f32_e32 v63, v67, v63
	v_fmamk_f32 v67, v94, 0xbf59a7d5, v137
	v_fmamk_f32 v68, v95, 0x3ee437d1, v138
	v_dual_mul_f32 v143, 0x3f65296c, v191 :: v_dual_fmamk_f32 v74, v90, 0x3f65296c, v168
	v_mul_f32_e32 v151, 0x3f763a35, v167
	s_delay_alu instid0(VALU_DEP_4) | instskip(SKIP_3) | instid1(VALU_DEP_4)
	v_add_f32_e32 v67, v61, v67
	v_dual_fmamk_f32 v69, v88, 0xbf763a35, v132 :: v_dual_mul_f32 v134, 0xbf763a35, v191
	v_mul_f32_e32 v130, 0x3ee437d1, v192
	v_mul_f32_e32 v141, 0xbf06c442, v186
	v_dual_add_f32 v67, v68, v67 :: v_dual_fmamk_f32 v68, v97, 0x3dbcf732, v139
	v_mul_f32_e32 v127, 0xbe8c1d8e, v192
	v_mul_f32_e32 v176, 0x3f06c442, v167
	v_dual_mul_f32 v149, 0xbf4c4adb, v166 :: v_dual_mul_f32 v150, 0xbf4c4adb, v191
	s_delay_alu instid0(VALU_DEP_4) | instskip(SKIP_1) | instid1(VALU_DEP_4)
	v_dual_add_f32 v67, v68, v67 :: v_dual_fmamk_f32 v68, v98, 0xbf1a4643, v142
	v_mul_f32_e32 v128, 0x3f3d2fb0, v75
	v_fmamk_f32 v72, v95, 0xbf59a7d5, v176
	v_mul_f32_e32 v164, 0x3f3d2fb0, v200
	v_mul_f32_e32 v153, 0xbf2c7751, v183
	v_dual_add_f32 v67, v68, v67 :: v_dual_fmamk_f32 v68, v99, 0x3f6eb680, v158
	v_mul_f32_e32 v203, 0x3f763a35, v186
	v_mul_f32_e32 v162, 0xbf7ba420, v204
	;; [unrolled: 1-line block ×3, first 2 shown]
	v_dual_mul_f32 v129, 0xbf7ba420, v189 :: v_dual_mul_f32 v160, 0xbf7ba420, v206
	v_add_f32_e32 v67, v68, v67
	v_fmamk_f32 v68, v100, 0xbf7ba420, v159
	v_fmamk_f32 v66, v91, 0x3e3c28d5, v131
	v_fmamk_f32 v195, v98, 0xbe8c1d8e, v203
	v_mul_f32_e32 v140, 0xbeb8f4ab, v179
	v_mul_f32_e32 v121, 0x3f6eb680, v204
	v_dual_add_f32 v67, v68, v67 :: v_dual_fmamk_f32 v68, v102, 0x3f3d2fb0, v147
	v_mul_f32_e32 v157, 0x3f2c7751, v179
	v_mul_f32_e32 v146, 0x3f7ee86f, v183
	v_dual_mul_f32 v209, 0x3f4c4adb, v190 :: v_dual_add_f32 v44, v44, v61
	s_delay_alu instid0(VALU_DEP_4) | instskip(SKIP_4) | instid1(VALU_DEP_4)
	v_dual_add_f32 v67, v68, v67 :: v_dual_fmamk_f32 v68, v101, 0xbe8c1d8e, v134
	v_dual_add_f32 v65, v66, v65 :: v_dual_fmamk_f32 v66, v93, 0xbf2c7751, v126
	v_mul_f32_e32 v170, 0xbf59a7d5, v206
	v_mul_f32_e32 v193, 0x3f2c7751, v191
	;; [unrolled: 1-line block ×3, first 2 shown]
	v_dual_mul_f32 v156, 0xbf1a4643, v192 :: v_dual_add_f32 v65, v66, v65
	v_fmamk_f32 v66, v96, 0x3f763a35, v127
	v_dual_fmamk_f32 v71, v88, 0xbf06c442, v170 :: v_dual_mul_f32 v218, 0xbf06c442, v183
	v_mul_f32_e32 v174, 0xbf763a35, v166
	s_delay_alu instid0(VALU_DEP_3) | instskip(SKIP_4) | instid1(VALU_DEP_3)
	v_dual_mul_f32 v169, 0xbe8c1d8e, v76 :: v_dual_add_f32 v66, v66, v65
	v_fmamk_f32 v65, v92, 0x3f4c4adb, v135
	v_dual_mul_f32 v211, 0xbf4c4adb, v167 :: v_dual_add_f32 v46, v46, v44
	v_mul_f32_e32 v202, 0x3e3c28d5, v179
	v_mul_f32_e32 v177, 0xbf1a4643, v189
	v_dual_add_f32 v65, v62, v65 :: v_dual_fmamk_f32 v194, v95, 0xbf1a4643, v211
	v_mul_f32_e32 v188, 0x3dbcf732, v76
	v_mul_f32_e32 v136, 0xbf65296c, v186
	s_delay_alu instid0(VALU_DEP_3)
	v_dual_mul_f32 v198, 0xbe3c28d5, v167 :: v_dual_add_f32 v65, v69, v65
	v_fmamk_f32 v69, v89, 0x3eb8f4ab, v121
	v_mul_f32_e32 v173, 0xbf7ba420, v200
	v_mul_f32_e32 v175, 0x3dbcf732, v75
	;; [unrolled: 1-line block ×4, first 2 shown]
	v_add_f32_e32 v65, v69, v65
	v_fmamk_f32 v69, v87, 0x3f06c442, v122
	v_add_f32_e32 v45, v45, v62
	v_mul_f32_e32 v201, 0x3f763a35, v179
	v_mul_f32_e32 v180, 0x3f6eb680, v75
	v_fmamk_f32 v73, v98, 0x3ee437d1, v136
	v_add_f32_e32 v69, v69, v65
	v_add_f32_e32 v65, v68, v67
	v_fmamk_f32 v67, v94, 0xbf1a4643, v149
	v_dual_mul_f32 v148, 0xbeb8f4ab, v190 :: v_dual_add_f32 v47, v47, v45
	s_delay_alu instid0(VALU_DEP_4) | instskip(NEXT) | instid1(VALU_DEP_3)
	v_add_f32_e32 v68, v70, v69
	v_dual_fmamk_f32 v70, v95, 0xbe8c1d8e, v151 :: v_dual_add_f32 v67, v61, v67
	v_fmamk_f32 v69, v91, 0x3f2c7751, v128
	s_delay_alu instid0(VALU_DEP_4)
	v_add_f32_e32 v33, v33, v47
	v_mul_f32_e32 v181, 0x3dbcf732, v189
	v_dual_mul_f32 v161, 0xbe8c1d8e, v204 :: v_dual_mul_f32 v228, 0xbe8c1d8e, v75
	v_dual_add_f32 v67, v70, v67 :: v_dual_fmamk_f32 v70, v97, 0x3f6eb680, v140
	v_add_f32_e32 v68, v69, v68
	v_fmamk_f32 v69, v93, 0x3e3c28d5, v129
	v_dual_add_f32 v33, v35, v33 :: v_dual_fmac_f32 v110, 0x3f2c7751, v87
	s_delay_alu instid0(VALU_DEP_4) | instskip(SKIP_1) | instid1(VALU_DEP_4)
	v_add_f32_e32 v67, v70, v67
	v_fmamk_f32 v70, v98, 0xbf59a7d5, v141
	v_dual_add_f32 v68, v69, v68 :: v_dual_fmamk_f32 v69, v96, 0xbf65296c, v130
	s_delay_alu instid0(VALU_DEP_4) | instskip(NEXT) | instid1(VALU_DEP_3)
	v_dual_mul_f32 v172, 0x3ee437d1, v199 :: v_dual_add_f32 v33, v41, v33
	v_dual_add_f32 v67, v70, v67 :: v_dual_fmamk_f32 v70, v99, 0x3dbcf732, v152
	s_delay_alu instid0(VALU_DEP_3) | instskip(SKIP_2) | instid1(VALU_DEP_4)
	v_dual_add_f32 v68, v69, v68 :: v_dual_mul_f32 v213, 0xbeb8f4ab, v183
	v_mul_f32_e32 v165, 0x3f6eb680, v199
	v_mul_f32_e32 v184, 0xbf59a7d5, v75
	v_dual_add_f32 v67, v70, v67 :: v_dual_fmamk_f32 v70, v100, 0x3f3d2fb0, v153
	v_mul_f32_e32 v229, 0xbf7ee86f, v167
	v_dual_add_f32 v33, v43, v33 :: v_dual_fmac_f32 v112, 0x3f65296c, v91
	v_mul_f32_e32 v43, 0xbf65296c, v179
	s_delay_alu instid0(VALU_DEP_4) | instskip(SKIP_4) | instid1(VALU_DEP_4)
	v_add_f32_e32 v67, v70, v67
	v_fmamk_f32 v70, v102, 0xbf7ba420, v154
	v_mul_f32_e32 v215, 0x3ee437d1, v189
	v_dual_mul_f32 v185, 0xbf1a4643, v206 :: v_dual_mul_f32 v224, 0xbf1a4643, v204
	v_fmamk_f32 v219, v95, 0x3dbcf732, v229
	v_dual_add_f32 v67, v70, v67 :: v_dual_fmamk_f32 v70, v101, 0x3ee437d1, v143
	v_mul_f32_e32 v196, 0x3ee437d1, v76
	v_fmamk_f32 v220, v93, 0xbf65296c, v215
	v_mul_f32_e32 v163, 0xbe8c1d8e, v199
	s_delay_alu instid0(VALU_DEP_4)
	v_dual_mul_f32 v226, 0xbf59a7d5, v200 :: v_dual_add_f32 v67, v70, v67
	v_mul_f32_e32 v178, 0x3f3d2fb0, v192
	v_fmamk_f32 v70, v94, 0xbe8c1d8e, v174
	v_fmamk_f32 v69, v92, 0x3f763a35, v169
	v_mul_f32_e32 v216, 0xbf65296c, v187
	v_mul_f32_e32 v200, 0xbe8c1d8e, v200
	;; [unrolled: 1-line block ×3, first 2 shown]
	s_delay_alu instid0(VALU_DEP_4) | instskip(SKIP_2) | instid1(VALU_DEP_3)
	v_dual_add_f32 v70, v61, v70 :: v_dual_add_f32 v69, v62, v69
	v_dual_add_f32 v33, v37, v33 :: v_dual_fmac_f32 v124, 0x3f4c4adb, v87
	v_dual_mul_f32 v225, 0xbf7ba420, v199 :: v_dual_add_f32 v32, v32, v46
	v_add_f32_e32 v69, v71, v69
	s_delay_alu instid0(VALU_DEP_4) | instskip(SKIP_2) | instid1(VALU_DEP_3)
	v_dual_fmamk_f32 v71, v89, 0xbf2c7751, v171 :: v_dual_add_f32 v70, v72, v70
	v_fmamk_f32 v72, v97, 0x3f3d2fb0, v157
	v_dual_fmamk_f32 v144, v88, 0x3f4c4adb, v185 :: v_dual_add_f32 v33, v39, v33
	v_add_f32_e32 v69, v71, v69
	s_delay_alu instid0(VALU_DEP_3) | instskip(SKIP_3) | instid1(VALU_DEP_4)
	v_dual_fmamk_f32 v71, v87, 0x3f65296c, v172 :: v_dual_add_f32 v72, v72, v70
	v_mul_f32_e32 v207, 0xbf06c442, v191
	v_mul_f32_e32 v227, 0xbf2c7751, v166
	;; [unrolled: 1-line block ×3, first 2 shown]
	v_add_f32_e32 v69, v71, v69
	v_fmamk_f32 v71, v90, 0x3e3c28d5, v173
	v_mul_f32_e32 v45, 0xbf1a4643, v75
	v_fmac_f32_e32 v109, 0xbf06c442, v89
	v_fmac_f32_e32 v169, 0xbf763a35, v92
	;; [unrolled: 1-line block ×3, first 2 shown]
	v_add_f32_e32 v69, v71, v69
	v_fmamk_f32 v71, v91, 0xbf7ee86f, v175
	v_mul_f32_e32 v210, 0xbf65296c, v166
	v_fmac_f32_e32 v119, 0x3f65296c, v88
	v_fmac_f32_e32 v185, 0xbf4c4adb, v88
	s_delay_alu instid0(VALU_DEP_4) | instskip(SKIP_4) | instid1(VALU_DEP_4)
	v_dual_mul_f32 v182, 0xbf59a7d5, v192 :: v_dual_add_f32 v69, v71, v69
	v_fmamk_f32 v71, v93, 0x3eb8f4ab, v155
	v_mul_f32_e32 v212, 0x3f2c7751, v187
	v_fmamk_f32 v208, v90, 0xbf06c442, v226
	v_mul_f32_e32 v222, 0x3f3d2fb0, v76
	v_dual_mul_f32 v214, 0xbf7ee86f, v190 :: v_dual_add_f32 v69, v71, v69
	v_dual_fmamk_f32 v71, v96, 0x3f4c4adb, v156 :: v_dual_add_f32 v32, v34, v32
	v_mul_f32_e32 v223, 0x3dbcf732, v206
	v_mul_f32_e32 v34, 0xbf7ba420, v192
	v_fmac_f32_e32 v106, 0xbe3c28d5, v92
	s_delay_alu instid0(VALU_DEP_4) | instskip(SKIP_3) | instid1(VALU_DEP_3)
	v_add_f32_e32 v70, v71, v69
	v_add_f32_e32 v32, v40, v32
	v_fmamk_f32 v69, v92, 0x3f7ee86f, v188
	v_dual_add_f32 v71, v73, v72 :: v_dual_fmamk_f32 v72, v99, 0xbf7ba420, v145
	v_dual_fmamk_f32 v73, v88, 0x3e3c28d5, v160 :: v_dual_add_f32 v32, v42, v32
	s_delay_alu instid0(VALU_DEP_3) | instskip(NEXT) | instid1(VALU_DEP_3)
	v_add_f32_e32 v69, v62, v69
	v_dual_fmac_f32 v120, 0xbf7ee86f, v89 :: v_dual_add_f32 v71, v72, v71
	v_fmamk_f32 v40, v95, 0x3f3d2fb0, v167
	s_delay_alu instid0(VALU_DEP_3) | instskip(SKIP_3) | instid1(VALU_DEP_4)
	v_dual_add_f32 v32, v36, v32 :: v_dual_add_f32 v69, v73, v69
	v_fmamk_f32 v72, v100, 0x3dbcf732, v146
	v_fmamk_f32 v73, v89, 0xbf763a35, v161
	;; [unrolled: 1-line block ×3, first 2 shown]
	v_add_f32_e32 v32, v38, v32
	s_delay_alu instid0(VALU_DEP_4) | instskip(NEXT) | instid1(VALU_DEP_4)
	v_dual_add_f32 v38, v62, v106 :: v_dual_add_f32 v71, v72, v71
	v_dual_fmamk_f32 v72, v102, 0x3f6eb680, v148 :: v_dual_add_f32 v69, v73, v69
	v_fmamk_f32 v73, v87, 0xbeb8f4ab, v165
	s_delay_alu instid0(VALU_DEP_4) | instskip(NEXT) | instid1(VALU_DEP_3)
	v_dual_add_f32 v32, v59, v32 :: v_dual_fmac_f32 v161, 0x3f763a35, v89
	v_dual_add_f32 v71, v72, v71 :: v_dual_fmamk_f32 v72, v101, 0xbf1a4643, v150
	s_delay_alu instid0(VALU_DEP_3) | instskip(NEXT) | instid1(VALU_DEP_3)
	v_add_f32_e32 v73, v73, v69
	v_add_f32_e32 v32, v57, v32
	v_mul_f32_e32 v44, 0xbf59a7d5, v189
	s_delay_alu instid0(VALU_DEP_4) | instskip(NEXT) | instid1(VALU_DEP_4)
	v_dual_mul_f32 v166, 0xbeb8f4ab, v166 :: v_dual_add_f32 v69, v72, v71
	v_dual_add_f32 v72, v74, v73 :: v_dual_fmamk_f32 v73, v91, 0x3f06c442, v184
	v_fmamk_f32 v71, v94, 0x3dbcf732, v197
	s_delay_alu instid0(VALU_DEP_4)
	v_fmamk_f32 v46, v93, 0x3f06c442, v44
	v_fmac_f32_e32 v108, 0x3eb8f4ab, v88
	v_add_f32_e32 v32, v55, v32
	v_add_f32_e32 v72, v73, v72
	v_fmamk_f32 v73, v93, 0xbf4c4adb, v177
	v_add_f32_e32 v71, v61, v71
	v_dual_fmac_f32 v177, 0x3f4c4adb, v93 :: v_dual_add_f32 v38, v108, v38
	v_add_f32_e32 v32, v53, v32
	s_delay_alu instid0(VALU_DEP_4) | instskip(SKIP_2) | instid1(VALU_DEP_4)
	v_dual_add_f32 v72, v73, v72 :: v_dual_fmamk_f32 v73, v96, 0xbf2c7751, v178
	v_fmac_f32_e32 v118, 0x3f7ee86f, v96
	v_fmac_f32_e32 v126, 0x3f2c7751, v93
	v_add_f32_e32 v32, v51, v32
	s_delay_alu instid0(VALU_DEP_4) | instskip(SKIP_4) | instid1(VALU_DEP_4)
	v_dual_fmamk_f32 v47, v91, 0x3f4c4adb, v45 :: v_dual_add_f32 v72, v73, v72
	v_fmamk_f32 v73, v92, 0x3f65296c, v196
	v_fma_f32 v51, 0xbf1a4643, v95, -v211
	v_fmac_f32_e32 v132, 0x3f763a35, v88
	v_fmac_f32_e32 v122, 0xbf06c442, v87
	v_dual_fmac_f32 v128, 0xbf2c7751, v91 :: v_dual_add_f32 v73, v62, v73
	v_fmamk_f32 v74, v95, 0xbf7ba420, v198
	v_fmac_f32_e32 v173, 0xbe3c28d5, v90
	v_fmac_f32_e32 v170, 0x3f06c442, v88
	s_delay_alu instid0(VALU_DEP_4) | instskip(NEXT) | instid1(VALU_DEP_4)
	v_dual_fmac_f32 v130, 0x3f65296c, v96 :: v_dual_add_f32 v73, v144, v73
	v_dual_fmamk_f32 v144, v89, 0xbe3c28d5, v162 :: v_dual_add_f32 v71, v74, v71
	v_fmamk_f32 v74, v97, 0xbe8c1d8e, v201
	v_fmac_f32_e32 v133, 0xbf06c442, v92
	s_delay_alu instid0(VALU_DEP_3) | instskip(NEXT) | instid1(VALU_DEP_3)
	v_dual_fmac_f32 v172, 0xbf65296c, v87 :: v_dual_add_f32 v73, v144, v73
	v_dual_fmamk_f32 v144, v87, 0xbf763a35, v163 :: v_dual_add_f32 v71, v74, v71
	v_fmamk_f32 v74, v98, 0x3f6eb680, v205
	v_fmac_f32_e32 v163, 0x3f763a35, v87
	s_delay_alu instid0(VALU_DEP_3) | instskip(SKIP_1) | instid1(VALU_DEP_4)
	v_dual_fmac_f32 v188, 0xbf7ee86f, v92 :: v_dual_add_f32 v73, v144, v73
	v_fmamk_f32 v144, v90, 0xbf2c7751, v164
	v_dual_add_f32 v71, v74, v71 :: v_dual_fmamk_f32 v74, v99, 0x3ee437d1, v216
	v_fmac_f32_e32 v156, 0xbf4c4adb, v96
	v_fmac_f32_e32 v125, 0xbeb8f4ab, v90
	s_delay_alu instid0(VALU_DEP_4)
	v_dual_add_f32 v73, v144, v73 :: v_dual_fmamk_f32 v144, v91, 0x3eb8f4ab, v180
	v_fmac_f32_e32 v160, 0xbe3c28d5, v88
	v_fmac_f32_e32 v168, 0xbf65296c, v90
	;; [unrolled: 1-line block ×4, first 2 shown]
	v_dual_add_f32 v73, v144, v73 :: v_dual_fmamk_f32 v144, v93, 0x3f7ee86f, v181
	v_fmac_f32_e32 v196, 0xbf65296c, v92
	v_fmac_f32_e32 v178, 0x3f2c7751, v96
	v_fmac_f32_e32 v180, 0xbeb8f4ab, v91
	v_fmac_f32_e32 v44, 0xbf06c442, v93
	v_add_f32_e32 v73, v144, v73
	v_dual_fmamk_f32 v144, v96, 0x3f06c442, v182 :: v_dual_add_f32 v71, v74, v71
	v_fmamk_f32 v74, v100, 0xbf59a7d5, v218
	v_fmac_f32_e32 v162, 0x3e3c28d5, v89
	v_fmac_f32_e32 v123, 0x3f7ee86f, v90
	;; [unrolled: 1-line block ×3, first 2 shown]
	s_delay_alu instid0(VALU_DEP_4) | instskip(SKIP_1) | instid1(VALU_DEP_1)
	v_dual_fmac_f32 v34, 0xbe3c28d5, v96 :: v_dual_add_f32 v71, v74, v71
	v_fmamk_f32 v74, v102, 0xbf1a4643, v209
	v_dual_add_f32 v71, v74, v71 :: v_dual_fmamk_f32 v74, v101, 0x3f3d2fb0, v193
	v_dual_fmac_f32 v171, 0x3f2c7751, v89 :: v_dual_fmac_f32 v164, 0x3f2c7751, v90
	v_fmac_f32_e32 v111, 0xbf763a35, v93
	s_delay_alu instid0(VALU_DEP_3) | instskip(SKIP_1) | instid1(VALU_DEP_1)
	v_add_f32_e32 v71, v74, v71
	v_fmamk_f32 v74, v94, 0x3ee437d1, v210
	v_add_f32_e32 v74, v61, v74
	s_delay_alu instid0(VALU_DEP_1) | instskip(SKIP_1) | instid1(VALU_DEP_1)
	v_add_f32_e32 v74, v194, v74
	v_fmamk_f32 v194, v97, 0xbf7ba420, v202
	v_add_f32_e32 v194, v194, v74
	v_add_f32_e32 v74, v144, v73
	v_fmamk_f32 v73, v92, 0x3f2c7751, v222
	v_fmac_f32_e32 v175, 0x3f7ee86f, v91
	v_fmac_f32_e32 v222, 0xbf2c7751, v92
	v_dual_add_f32 v144, v195, v194 :: v_dual_fmamk_f32 v195, v88, 0x3f7ee86f, v223
	s_delay_alu instid0(VALU_DEP_4) | instskip(SKIP_2) | instid1(VALU_DEP_3)
	v_dual_add_f32 v73, v62, v73 :: v_dual_fmamk_f32 v194, v99, 0x3f3d2fb0, v212
	v_fmac_f32_e32 v121, 0xbeb8f4ab, v89
	v_fmac_f32_e32 v223, 0xbf7ee86f, v88
	v_add_f32_e32 v73, v195, v73
	s_delay_alu instid0(VALU_DEP_4) | instskip(SKIP_3) | instid1(VALU_DEP_4)
	v_dual_fmamk_f32 v195, v89, 0x3f4c4adb, v224 :: v_dual_add_f32 v144, v194, v144
	v_fmamk_f32 v194, v100, 0x3f6eb680, v213
	v_fmac_f32_e32 v224, 0xbf4c4adb, v89
	v_fmac_f32_e32 v129, 0xbe3c28d5, v93
	v_add_f32_e32 v73, v195, v73
	s_delay_alu instid0(VALU_DEP_4) | instskip(SKIP_3) | instid1(VALU_DEP_4)
	v_dual_fmamk_f32 v195, v87, 0x3e3c28d5, v225 :: v_dual_add_f32 v144, v194, v144
	v_fmamk_f32 v194, v102, 0x3dbcf732, v214
	v_fmac_f32_e32 v225, 0xbe3c28d5, v87
	v_fmac_f32_e32 v155, 0xbeb8f4ab, v93
	v_add_f32_e32 v195, v195, v73
	s_delay_alu instid0(VALU_DEP_4) | instskip(SKIP_1) | instid1(VALU_DEP_3)
	v_dual_fmac_f32 v181, 0xbf7ee86f, v93 :: v_dual_add_f32 v144, v194, v144
	v_fmamk_f32 v194, v101, 0xbf59a7d5, v207
	v_dual_fmac_f32 v226, 0x3f06c442, v90 :: v_dual_add_f32 v195, v208, v195
	v_fmamk_f32 v208, v91, 0xbf763a35, v228
	v_fmac_f32_e32 v228, 0x3f763a35, v91
	s_delay_alu instid0(VALU_DEP_2) | instskip(NEXT) | instid1(VALU_DEP_1)
	v_dual_add_f32 v208, v208, v195 :: v_dual_mul_f32 v195, 0xbe3c28d5, v186
	v_add_f32_e32 v220, v220, v208
	v_dual_mul_f32 v208, 0x3f06c442, v187 :: v_dual_add_f32 v73, v194, v144
	v_fmamk_f32 v144, v94, 0x3f3d2fb0, v227
	v_mul_f32_e32 v194, 0xbf4c4adb, v179
	v_fmamk_f32 v231, v98, 0xbf7ba420, v195
	v_mul_f32_e32 v179, 0xbf7ee86f, v186
	s_delay_alu instid0(VALU_DEP_4) | instskip(SKIP_2) | instid1(VALU_DEP_4)
	v_add_f32_e32 v217, v61, v144
	v_mul_f32_e32 v144, 0x3f6eb680, v192
	v_fmamk_f32 v221, v97, 0xbf1a4643, v194
	v_fmamk_f32 v39, v98, 0x3dbcf732, v179
	s_delay_alu instid0(VALU_DEP_3) | instskip(SKIP_1) | instid1(VALU_DEP_2)
	v_dual_add_f32 v219, v219, v217 :: v_dual_fmamk_f32 v230, v96, 0xbeb8f4ab, v144
	v_mul_f32_e32 v217, 0x3f6eb680, v76
	v_dual_fmac_f32 v144, 0x3eb8f4ab, v96 :: v_dual_add_f32 v221, v221, v219
	s_delay_alu instid0(VALU_DEP_3) | instskip(NEXT) | instid1(VALU_DEP_3)
	v_add_f32_e32 v76, v230, v220
	v_fmamk_f32 v220, v92, 0x3eb8f4ab, v217
	v_mul_f32_e32 v219, 0x3f3d2fb0, v206
	v_fmamk_f32 v230, v99, 0xbf59a7d5, v208
	v_dual_add_f32 v221, v231, v221 :: v_dual_mul_f32 v206, 0x3f763a35, v183
	s_delay_alu instid0(VALU_DEP_3) | instskip(SKIP_1) | instid1(VALU_DEP_3)
	v_dual_add_f32 v231, v62, v220 :: v_dual_fmamk_f32 v232, v88, 0x3f2c7751, v219
	v_mul_f32_e32 v220, 0x3ee437d1, v204
	v_dual_add_f32 v230, v230, v221 :: v_dual_fmamk_f32 v233, v100, 0xbe8c1d8e, v206
	s_delay_alu instid0(VALU_DEP_3) | instskip(NEXT) | instid1(VALU_DEP_3)
	v_dual_mul_f32 v204, 0x3f65296c, v190 :: v_dual_add_f32 v231, v232, v231
	v_fmamk_f32 v232, v89, 0x3f65296c, v220
	s_delay_alu instid0(VALU_DEP_3) | instskip(NEXT) | instid1(VALU_DEP_3)
	v_dual_mul_f32 v221, 0x3dbcf732, v199 :: v_dual_add_f32 v230, v233, v230
	v_fmamk_f32 v233, v102, 0x3ee437d1, v204
	v_mul_f32_e32 v199, 0x3eb8f4ab, v191
	s_delay_alu instid0(VALU_DEP_3) | instskip(SKIP_1) | instid1(VALU_DEP_4)
	v_dual_add_f32 v231, v232, v231 :: v_dual_fmamk_f32 v232, v87, 0x3f7ee86f, v221
	v_fmac_f32_e32 v220, 0xbf65296c, v89
	v_add_f32_e32 v230, v233, v230
	s_delay_alu instid0(VALU_DEP_4) | instskip(SKIP_3) | instid1(VALU_DEP_4)
	v_fmamk_f32 v233, v101, 0x3f6eb680, v199
	v_fmac_f32_e32 v217, 0xbeb8f4ab, v92
	v_dual_add_f32 v231, v232, v231 :: v_dual_fmamk_f32 v232, v90, 0x3f763a35, v200
	v_fmac_f32_e32 v200, 0xbf763a35, v90
	v_add_f32_e32 v75, v233, v230
	v_fmac_f32_e32 v219, 0xbf2c7751, v88
	v_fmac_f32_e32 v221, 0xbf7ee86f, v87
	v_add_f32_e32 v230, v232, v231
	s_delay_alu instid0(VALU_DEP_1) | instskip(SKIP_1) | instid1(VALU_DEP_2)
	v_add_f32_e32 v35, v47, v230
	v_fmamk_f32 v47, v94, 0x3f6eb680, v166
	v_add_f32_e32 v35, v46, v35
	s_delay_alu instid0(VALU_DEP_2) | instskip(SKIP_2) | instid1(VALU_DEP_3)
	v_add_f32_e32 v41, v61, v47
	v_fma_f32 v46, 0xbf59a7d5, v95, -v176
	v_fma_f32 v47, 0xbf7ba420, v95, -v198
	v_dual_add_f32 v37, v40, v41 :: v_dual_fmamk_f32 v40, v97, 0x3ee437d1, v43
	v_fma_f32 v41, 0xbe8c1d8e, v95, -v151
	v_fmac_f32_e32 v215, 0x3f65296c, v93
	s_delay_alu instid0(VALU_DEP_3) | instskip(SKIP_2) | instid1(VALU_DEP_3)
	v_add_f32_e32 v37, v40, v37
	v_add_f32_e32 v40, v60, v33
	;; [unrolled: 1-line block ×3, first 2 shown]
	v_dual_mul_f32 v60, 0xbf763a35, v187 :: v_dual_add_f32 v35, v39, v37
	s_delay_alu instid0(VALU_DEP_3) | instskip(SKIP_1) | instid1(VALU_DEP_3)
	v_add_f32_e32 v36, v58, v40
	v_mul_f32_e32 v58, 0xbf4c4adb, v183
	v_fmamk_f32 v37, v99, 0xbe8c1d8e, v60
	v_fma_f32 v39, 0xbf7ba420, v100, -v159
	v_fma_f32 v55, 0x3dbcf732, v95, -v229
	s_delay_alu instid0(VALU_DEP_3) | instskip(NEXT) | instid1(VALU_DEP_1)
	v_dual_add_f32 v36, v56, v36 :: v_dual_add_f32 v35, v37, v35
	v_add_f32_e32 v36, v54, v36
	v_mul_f32_e32 v54, 0xbf06c442, v190
	s_delay_alu instid0(VALU_DEP_2) | instskip(SKIP_1) | instid1(VALU_DEP_2)
	v_add_f32_e32 v36, v52, v36
	v_mul_f32_e32 v52, 0xbe3c28d5, v191
	v_dual_add_f32 v36, v50, v36 :: v_dual_fmac_f32 v45, 0xbf4c4adb, v91
	s_delay_alu instid0(VALU_DEP_1) | instskip(SKIP_4) | instid1(VALU_DEP_4)
	v_add_f32_e32 v1, v1, v36
	v_add_f32_e32 v36, v49, v32
	v_fma_f32 v49, 0xbf59a7d5, v100, -v218
	v_fmac_f32_e32 v127, 0xbf763a35, v96
	v_fmamk_f32 v37, v100, 0xbf1a4643, v58
	v_dual_add_f32 v1, v3, v1 :: v_dual_add_f32 v0, v0, v36
	v_fma_f32 v36, 0x3f6eb680, v95, -v113
	s_delay_alu instid0(VALU_DEP_3) | instskip(SKIP_1) | instid1(VALU_DEP_4)
	v_add_f32_e32 v35, v37, v35
	v_dual_add_f32 v37, v109, v38 :: v_dual_fmamk_f32 v38, v102, 0xbf59a7d5, v54
	v_add_f32_e32 v0, v2, v0
	v_fma_f32 v56, 0x3f3d2fb0, v95, -v167
	v_fmac_f32_e32 v165, 0x3eb8f4ab, v87
	s_delay_alu instid0(VALU_DEP_4) | instskip(SKIP_3) | instid1(VALU_DEP_3)
	v_add_f32_e32 v37, v110, v37
	v_dual_add_f32 v35, v38, v35 :: v_dual_fmamk_f32 v38, v101, 0xbf7ba420, v52
	v_fmac_f32_e32 v131, 0xbe3c28d5, v91
	v_fma_f32 v52, 0xbf7ba420, v101, -v52
	v_dual_add_f32 v37, v115, v37 :: v_dual_add_f32 v32, v38, v35
	v_fma_f32 v35, 0xbf7ba420, v94, -v114
	v_fma_f32 v38, 0x3ee437d1, v95, -v138
	s_delay_alu instid0(VALU_DEP_3) | instskip(SKIP_1) | instid1(VALU_DEP_4)
	v_add_f32_e32 v3, v112, v37
	v_add_f32_e32 v37, v62, v133
	;; [unrolled: 1-line block ×3, first 2 shown]
	s_delay_alu instid0(VALU_DEP_3) | instskip(NEXT) | instid1(VALU_DEP_3)
	v_add_f32_e32 v2, v111, v3
	v_add_f32_e32 v37, v119, v37
	s_delay_alu instid0(VALU_DEP_3) | instskip(SKIP_1) | instid1(VALU_DEP_4)
	v_add_f32_e32 v35, v36, v35
	v_fma_f32 v36, 0xbf59a7d5, v97, -v107
	v_add_f32_e32 v3, v118, v2
	v_fma_f32 v2, 0xbf59a7d5, v94, -v137
	v_add_f32_e32 v37, v120, v37
	s_delay_alu instid0(VALU_DEP_4) | instskip(SKIP_1) | instid1(VALU_DEP_3)
	v_add_f32_e32 v35, v36, v35
	v_fma_f32 v36, 0x3f3d2fb0, v98, -v103
	v_dual_add_f32 v2, v61, v2 :: v_dual_add_f32 v37, v124, v37
	v_fma_f32 v43, 0x3ee437d1, v97, -v43
	s_delay_alu instid0(VALU_DEP_3) | instskip(SKIP_1) | instid1(VALU_DEP_4)
	v_add_f32_e32 v35, v36, v35
	v_fma_f32 v36, 0xbf1a4643, v99, -v104
	v_add_f32_e32 v2, v38, v2
	v_fma_f32 v38, 0x3dbcf732, v97, -v139
	v_add_f32_e32 v37, v125, v37
	s_delay_alu instid0(VALU_DEP_4) | instskip(SKIP_1) | instid1(VALU_DEP_4)
	v_add_f32_e32 v35, v36, v35
	v_fma_f32 v36, 0x3ee437d1, v100, -v105
	v_add_f32_e32 v2, v38, v2
	v_fma_f32 v38, 0xbf1a4643, v98, -v142
	v_add_f32_e32 v37, v131, v37
	s_delay_alu instid0(VALU_DEP_4) | instskip(SKIP_1) | instid1(VALU_DEP_4)
	v_add_f32_e32 v35, v36, v35
	v_fma_f32 v36, 0xbe8c1d8e, v102, -v116
	v_add_f32_e32 v2, v38, v2
	v_fma_f32 v38, 0x3f6eb680, v99, -v158
	s_delay_alu instid0(VALU_DEP_3) | instskip(SKIP_1) | instid1(VALU_DEP_3)
	v_add_f32_e32 v35, v36, v35
	v_fma_f32 v36, 0x3dbcf732, v101, -v117
	v_add_f32_e32 v38, v38, v2
	s_delay_alu instid0(VALU_DEP_2) | instskip(NEXT) | instid1(VALU_DEP_2)
	v_dual_add_f32 v2, v36, v35 :: v_dual_add_f32 v35, v126, v37
	v_add_f32_e32 v37, v39, v38
	v_fma_f32 v38, 0x3f3d2fb0, v102, -v147
	v_add_f32_e32 v39, v62, v135
	s_delay_alu instid0(VALU_DEP_4) | instskip(SKIP_1) | instid1(VALU_DEP_4)
	v_add_f32_e32 v36, v127, v35
	v_fma_f32 v35, 0xbf1a4643, v94, -v149
	v_add_f32_e32 v37, v38, v37
	v_fma_f32 v38, 0xbe8c1d8e, v101, -v134
	v_add_f32_e32 v39, v132, v39
	s_delay_alu instid0(VALU_DEP_2) | instskip(NEXT) | instid1(VALU_DEP_2)
	v_dual_add_f32 v40, v61, v35 :: v_dual_add_f32 v35, v38, v37
	v_add_f32_e32 v37, v121, v39
	v_fma_f32 v39, 0x3f6eb680, v97, -v140
	s_delay_alu instid0(VALU_DEP_3) | instskip(SKIP_2) | instid1(VALU_DEP_3)
	v_add_f32_e32 v38, v41, v40
	v_add_f32_e32 v40, v62, v169
	v_fma_f32 v41, 0xbf7ba420, v102, -v154
	v_dual_add_f32 v37, v122, v37 :: v_dual_add_f32 v38, v39, v38
	v_fma_f32 v39, 0xbf59a7d5, v98, -v141
	s_delay_alu instid0(VALU_DEP_2) | instskip(NEXT) | instid1(VALU_DEP_2)
	v_dual_add_f32 v40, v170, v40 :: v_dual_add_f32 v37, v123, v37
	v_add_f32_e32 v38, v39, v38
	v_fma_f32 v39, 0x3dbcf732, v99, -v152
	s_delay_alu instid0(VALU_DEP_3) | instskip(NEXT) | instid1(VALU_DEP_2)
	v_dual_add_f32 v40, v171, v40 :: v_dual_add_f32 v37, v128, v37
	v_add_f32_e32 v38, v39, v38
	v_fma_f32 v39, 0x3f3d2fb0, v100, -v153
	s_delay_alu instid0(VALU_DEP_3) | instskip(NEXT) | instid1(VALU_DEP_1)
	v_dual_add_f32 v40, v172, v40 :: v_dual_add_f32 v37, v129, v37
	v_dual_add_f32 v39, v39, v38 :: v_dual_add_f32 v40, v173, v40
	s_delay_alu instid0(VALU_DEP_2) | instskip(SKIP_1) | instid1(VALU_DEP_3)
	v_add_f32_e32 v38, v130, v37
	v_fma_f32 v37, 0xbe8c1d8e, v94, -v174
	v_add_f32_e32 v39, v41, v39
	v_fma_f32 v41, 0x3ee437d1, v101, -v143
	v_add_f32_e32 v40, v175, v40
	s_delay_alu instid0(VALU_DEP_4) | instskip(NEXT) | instid1(VALU_DEP_3)
	v_add_f32_e32 v42, v61, v37
	v_add_f32_e32 v37, v41, v39
	s_delay_alu instid0(VALU_DEP_3) | instskip(NEXT) | instid1(VALU_DEP_3)
	v_add_f32_e32 v39, v155, v40
	v_add_f32_e32 v41, v46, v42
	v_fma_f32 v42, 0x3f3d2fb0, v97, -v157
	v_add_f32_e32 v46, v62, v188
	s_delay_alu instid0(VALU_DEP_4) | instskip(SKIP_1) | instid1(VALU_DEP_4)
	v_add_f32_e32 v40, v156, v39
	v_fma_f32 v39, 0x3dbcf732, v94, -v197
	v_add_f32_e32 v41, v42, v41
	v_fma_f32 v42, 0x3ee437d1, v98, -v136
	s_delay_alu instid0(VALU_DEP_3) | instskip(NEXT) | instid1(VALU_DEP_2)
	v_dual_add_f32 v46, v160, v46 :: v_dual_add_f32 v39, v61, v39
	v_add_f32_e32 v41, v42, v41
	v_fma_f32 v42, 0xbf7ba420, v99, -v145
	s_delay_alu instid0(VALU_DEP_3) | instskip(SKIP_1) | instid1(VALU_DEP_3)
	v_dual_add_f32 v46, v161, v46 :: v_dual_add_f32 v39, v47, v39
	v_fma_f32 v47, 0xbe8c1d8e, v97, -v201
	v_add_f32_e32 v41, v42, v41
	v_fma_f32 v42, 0x3dbcf732, v100, -v146
	s_delay_alu instid0(VALU_DEP_3) | instskip(SKIP_1) | instid1(VALU_DEP_3)
	v_dual_add_f32 v46, v165, v46 :: v_dual_add_f32 v39, v47, v39
	v_fma_f32 v47, 0x3f6eb680, v98, -v205
	;; [unrolled: 5-line block ×3, first 2 shown]
	v_add_f32_e32 v41, v42, v41
	v_fma_f32 v42, 0xbf1a4643, v101, -v150
	s_delay_alu instid0(VALU_DEP_3) | instskip(NEXT) | instid1(VALU_DEP_2)
	v_dual_add_f32 v46, v184, v46 :: v_dual_add_f32 v47, v47, v39
	v_add_f32_e32 v39, v42, v41
	s_delay_alu instid0(VALU_DEP_2) | instskip(NEXT) | instid1(VALU_DEP_3)
	v_add_f32_e32 v41, v177, v46
	v_add_f32_e32 v46, v49, v47
	v_fma_f32 v47, 0xbf1a4643, v102, -v209
	v_add_f32_e32 v49, v62, v196
	s_delay_alu instid0(VALU_DEP_4) | instskip(SKIP_1) | instid1(VALU_DEP_4)
	v_add_f32_e32 v42, v178, v41
	v_fma_f32 v41, 0x3ee437d1, v94, -v210
	v_add_f32_e32 v46, v47, v46
	v_fma_f32 v47, 0x3f3d2fb0, v101, -v193
	v_add_f32_e32 v49, v185, v49
	s_delay_alu instid0(VALU_DEP_2) | instskip(NEXT) | instid1(VALU_DEP_2)
	v_dual_add_f32 v50, v61, v41 :: v_dual_add_f32 v41, v47, v46
	v_add_f32_e32 v46, v162, v49
	v_fma_f32 v49, 0xbf7ba420, v97, -v202
	s_delay_alu instid0(VALU_DEP_3) | instskip(SKIP_2) | instid1(VALU_DEP_3)
	v_add_f32_e32 v47, v51, v50
	v_add_f32_e32 v50, v62, v222
	v_fma_f32 v51, 0x3dbcf732, v102, -v214
	v_dual_add_f32 v46, v163, v46 :: v_dual_add_f32 v47, v49, v47
	v_fma_f32 v49, 0xbe8c1d8e, v98, -v203
	s_delay_alu instid0(VALU_DEP_4) | instskip(NEXT) | instid1(VALU_DEP_2)
	v_add_f32_e32 v50, v223, v50
	v_dual_add_f32 v46, v164, v46 :: v_dual_add_f32 v47, v49, v47
	v_fma_f32 v49, 0x3f3d2fb0, v99, -v212
	s_delay_alu instid0(VALU_DEP_3) | instskip(NEXT) | instid1(VALU_DEP_2)
	v_add_f32_e32 v50, v224, v50
	v_dual_add_f32 v46, v180, v46 :: v_dual_add_f32 v47, v49, v47
	v_fma_f32 v49, 0x3f6eb680, v100, -v213
	s_delay_alu instid0(VALU_DEP_3) | instskip(NEXT) | instid1(VALU_DEP_3)
	v_add_f32_e32 v50, v225, v50
	v_add_f32_e32 v46, v181, v46
	s_delay_alu instid0(VALU_DEP_2) | instskip(NEXT) | instid1(VALU_DEP_2)
	v_dual_add_f32 v49, v49, v47 :: v_dual_add_f32 v50, v226, v50
	v_add_f32_e32 v47, v182, v46
	v_fma_f32 v46, 0x3f3d2fb0, v94, -v227
	s_delay_alu instid0(VALU_DEP_3) | instskip(SKIP_2) | instid1(VALU_DEP_2)
	v_add_f32_e32 v49, v51, v49
	v_fma_f32 v51, 0xbf59a7d5, v101, -v207
	v_add_f32_e32 v50, v228, v50
	v_dual_add_f32 v53, v61, v46 :: v_dual_add_f32 v46, v51, v49
	s_delay_alu instid0(VALU_DEP_2) | instskip(SKIP_1) | instid1(VALU_DEP_3)
	v_add_f32_e32 v49, v215, v50
	v_fma_f32 v50, 0x3f6eb680, v94, -v166
	v_add_f32_e32 v51, v55, v53
	v_add_f32_e32 v55, v62, v217
	v_fma_f32 v53, 0xbf1a4643, v97, -v194
	s_delay_alu instid0(VALU_DEP_2) | instskip(NEXT) | instid1(VALU_DEP_2)
	v_dual_add_f32 v50, v61, v50 :: v_dual_add_f32 v55, v219, v55
	v_add_f32_e32 v51, v53, v51
	v_fma_f32 v53, 0xbf7ba420, v98, -v195
	s_delay_alu instid0(VALU_DEP_3) | instskip(NEXT) | instid1(VALU_DEP_4)
	v_add_f32_e32 v50, v56, v50
	v_add_f32_e32 v55, v220, v55
	s_delay_alu instid0(VALU_DEP_3) | instskip(NEXT) | instid1(VALU_DEP_3)
	v_add_f32_e32 v51, v53, v51
	v_add_f32_e32 v43, v43, v50
	v_fma_f32 v50, 0x3dbcf732, v98, -v179
	v_fma_f32 v53, 0xbf59a7d5, v99, -v208
	v_add_f32_e32 v55, v221, v55
	s_delay_alu instid0(VALU_DEP_3) | instskip(SKIP_1) | instid1(VALU_DEP_4)
	v_add_f32_e32 v43, v50, v43
	v_fma_f32 v50, 0xbe8c1d8e, v99, -v60
	v_add_f32_e32 v51, v53, v51
	v_fma_f32 v53, 0xbe8c1d8e, v100, -v206
	v_add_f32_e32 v55, v200, v55
	s_delay_alu instid0(VALU_DEP_4) | instskip(SKIP_1) | instid1(VALU_DEP_4)
	v_add_f32_e32 v43, v50, v43
	v_fma_f32 v50, 0xbf1a4643, v100, -v58
	v_add_f32_e32 v51, v53, v51
	v_fma_f32 v53, 0x3ee437d1, v102, -v204
	v_add_f32_e32 v45, v45, v55
	s_delay_alu instid0(VALU_DEP_4) | instskip(SKIP_1) | instid1(VALU_DEP_4)
	v_add_f32_e32 v43, v50, v43
	v_fma_f32 v50, 0xbf59a7d5, v102, -v54
	v_dual_add_f32 v51, v53, v51 :: v_dual_and_b32 v54, 0xffff, v80
	v_fma_f32 v53, 0x3f6eb680, v101, -v199
	v_add_f32_e32 v45, v44, v45
	s_delay_alu instid0(VALU_DEP_4) | instskip(NEXT) | instid1(VALU_DEP_4)
	v_add_f32_e32 v55, v50, v43
	v_lshl_add_u32 v54, v54, 3, v79
	s_delay_alu instid0(VALU_DEP_4) | instskip(NEXT) | instid1(VALU_DEP_3)
	v_dual_add_f32 v44, v144, v49 :: v_dual_add_f32 v43, v53, v51
	v_dual_add_f32 v50, v34, v45 :: v_dual_add_f32 v49, v52, v55
	ds_store_2addr_b64 v54, v[0:1], v[32:33] offset1:1
	ds_store_2addr_b64 v54, v[75:76], v[73:74] offset0:2 offset1:3
	ds_store_2addr_b64 v54, v[71:72], v[69:70] offset0:4 offset1:5
	;; [unrolled: 1-line block ×7, first 2 shown]
	ds_store_b64 v54, v[49:50] offset:128
.LBB0_13:
	s_wait_alu 0xfffe
	s_or_b32 exec_lo, exec_lo, s4
	global_wb scope:SCOPE_SE
	s_wait_dscnt 0x0
	s_barrier_signal -1
	s_barrier_wait -1
	global_inv scope:SCOPE_SE
	ds_load_2addr_b64 v[0:3], v82 offset0:102 offset1:153
	ds_load_2addr_b64 v[32:35], v82 offset0:204 offset1:255
	s_wait_dscnt 0x1
	v_dual_mul_f32 v47, v5, v3 :: v_dual_add_nc_u32 v46, 0x800, v82
	ds_load_b64 v[44:45], v82 offset:3264
	ds_load_2addr_b64 v[36:39], v46 offset0:50 offset1:101
	ds_load_2addr_b64 v[40:43], v82 offset1:51
	v_mul_f32_e32 v5, v5, v2
	s_wait_dscnt 0x3
	v_mul_f32_e32 v49, v9, v33
	v_dual_mul_f32 v50, v13, v35 :: v_dual_fmac_f32 v47, v4, v2
	global_wb scope:SCOPE_SE
	s_wait_dscnt 0x0
	v_fma_f32 v2, v4, v3, -v5
	s_barrier_signal -1
	s_barrier_wait -1
	global_inv scope:SCOPE_SE
	v_mul_f32_e32 v51, v15, v45
	v_mul_f32_e32 v3, v7, v37
	;; [unrolled: 1-line block ×3, first 2 shown]
	v_dual_mul_f32 v9, v9, v32 :: v_dual_fmac_f32 v50, v12, v34
	v_mul_f32_e32 v5, v11, v38
	s_delay_alu instid0(VALU_DEP_4) | instskip(SKIP_3) | instid1(VALU_DEP_4)
	v_fmac_f32_e32 v3, v6, v36
	v_mul_f32_e32 v13, v13, v34
	v_fma_f32 v6, v6, v37, -v4
	v_dual_fmac_f32 v49, v8, v32 :: v_dual_mul_f32 v32, v11, v39
	v_add_f32_e32 v4, v47, v3
	v_mul_f32_e32 v15, v15, v44
	v_fma_f32 v9, v8, v33, -v9
	v_fma_f32 v11, v10, v39, -v5
	v_fmac_f32_e32 v32, v10, v38
	v_add_f32_e32 v7, v41, v2
	v_add_f32_e32 v8, v2, v6
	v_dual_sub_f32 v10, v2, v6 :: v_dual_add_f32 v5, v40, v47
	v_fma_f32 v2, -0.5, v4, v40
	v_fma_f32 v12, v12, v35, -v13
	v_fma_f32 v13, v14, v45, -v15
	v_sub_f32_e32 v15, v9, v11
	v_dual_add_f32 v4, v5, v3 :: v_dual_add_f32 v5, v7, v6
	v_fmamk_f32 v6, v10, 0xbf5db3d7, v2
	v_dual_fmac_f32 v2, 0x3f5db3d7, v10 :: v_dual_fmac_f32 v51, v14, v44
	v_sub_f32_e32 v14, v47, v3
	v_fma_f32 v3, -0.5, v8, v41
	v_add_f32_e32 v8, v49, v32
	v_add_f32_e32 v10, v42, v49
	v_sub_f32_e32 v34, v50, v51
	s_delay_alu instid0(VALU_DEP_4) | instskip(SKIP_3) | instid1(VALU_DEP_3)
	v_fmamk_f32 v7, v14, 0x3f5db3d7, v3
	v_dual_fmac_f32 v3, 0xbf5db3d7, v14 :: v_dual_add_f32 v14, v9, v11
	v_fma_f32 v42, -0.5, v8, v42
	v_dual_add_f32 v8, v10, v32 :: v_dual_add_f32 v9, v43, v9
	v_dual_fmac_f32 v43, -0.5, v14 :: v_dual_sub_f32 v14, v49, v32
	s_delay_alu instid0(VALU_DEP_2) | instskip(NEXT) | instid1(VALU_DEP_2)
	v_dual_add_f32 v32, v0, v50 :: v_dual_add_f32 v9, v9, v11
	v_fmamk_f32 v11, v14, 0x3f5db3d7, v43
	v_dual_fmac_f32 v43, 0xbf5db3d7, v14 :: v_dual_add_f32 v14, v12, v13
	v_fmamk_f32 v10, v15, 0xbf5db3d7, v42
	v_fmac_f32_e32 v42, 0x3f5db3d7, v15
	v_add_f32_e32 v15, v50, v51
	s_delay_alu instid0(VALU_DEP_1) | instskip(SKIP_3) | instid1(VALU_DEP_3)
	v_fma_f32 v0, -0.5, v15, v0
	v_sub_f32_e32 v15, v12, v13
	v_add_f32_e32 v33, v1, v12
	v_dual_fmac_f32 v1, -0.5, v14 :: v_dual_add_f32 v12, v32, v51
	v_fmamk_f32 v14, v15, 0xbf5db3d7, v0
	s_delay_alu instid0(VALU_DEP_3) | instskip(NEXT) | instid1(VALU_DEP_3)
	v_dual_fmac_f32 v0, 0x3f5db3d7, v15 :: v_dual_add_f32 v13, v33, v13
	v_fmamk_f32 v15, v34, 0x3f5db3d7, v1
	v_fmac_f32_e32 v1, 0xbf5db3d7, v34
	ds_store_2addr_b64 v86, v[4:5], v[6:7] offset1:17
	ds_store_b64 v86, v[2:3] offset:272
	ds_store_2addr_b64 v85, v[8:9], v[10:11] offset1:17
	ds_store_b64 v85, v[42:43] offset:272
	;; [unrolled: 2-line block ×3, first 2 shown]
	global_wb scope:SCOPE_SE
	s_wait_dscnt 0x0
	s_barrier_signal -1
	s_barrier_wait -1
	global_inv scope:SCOPE_SE
	ds_load_2addr_b64 v[0:3], v82 offset1:51
	ds_load_2addr_b64 v[4:7], v82 offset0:102 offset1:153
	ds_load_2addr_b64 v[8:11], v82 offset0:204 offset1:255
	;; [unrolled: 1-line block ×3, first 2 shown]
	ds_load_b64 v[32:33], v82 offset:3264
	s_wait_dscnt 0x4
	v_mul_f32_e32 v34, v29, v3
	s_wait_dscnt 0x3
	v_mul_f32_e32 v35, v25, v7
	v_mul_f32_e32 v25, v25, v6
	s_delay_alu instid0(VALU_DEP_3)
	v_fmac_f32_e32 v34, v28, v2
	v_dual_mul_f32 v2, v29, v2 :: v_dual_mul_f32 v29, v31, v5
	v_mul_f32_e32 v31, v31, v4
	v_fmac_f32_e32 v35, v24, v6
	s_wait_dscnt 0x2
	v_mul_f32_e32 v6, v21, v10
	v_fma_f32 v2, v28, v3, -v2
	v_fmac_f32_e32 v29, v30, v4
	v_fma_f32 v4, v24, v7, -v25
	v_dual_mul_f32 v24, v27, v9 :: v_dual_mul_f32 v25, v21, v11
	s_delay_alu instid0(VALU_DEP_1)
	v_dual_fmac_f32 v24, v26, v8 :: v_dual_fmac_f32 v25, v20, v10
	s_wait_dscnt 0x1
	v_mul_f32_e32 v10, v17, v14
	v_fma_f32 v3, v30, v5, -v31
	v_mul_f32_e32 v5, v27, v8
	s_wait_dscnt 0x0
	v_mul_f32_e32 v8, v19, v32
	v_fma_f32 v20, v20, v11, -v6
	v_mul_f32_e32 v6, v23, v12
	v_fma_f32 v10, v16, v15, -v10
	v_fma_f32 v21, v26, v9, -v5
	v_mul_f32_e32 v9, v17, v15
	v_fma_f32 v8, v18, v33, -v8
	v_mul_f32_e32 v5, v19, v33
	v_fma_f32 v6, v22, v13, -v6
	v_mul_f32_e32 v7, v23, v13
	v_dual_fmac_f32 v9, v16, v14 :: v_dual_sub_f32 v28, v21, v20
	v_sub_f32_e32 v14, v2, v8
	v_add_f32_e32 v15, v2, v8
	v_sub_f32_e32 v17, v3, v10
	s_delay_alu instid0(VALU_DEP_3) | instskip(SKIP_2) | instid1(VALU_DEP_3)
	v_dual_mul_f32 v8, 0x3f248dbb, v14 :: v_dual_fmac_f32 v7, v22, v12
	v_sub_f32_e32 v16, v29, v9
	v_sub_f32_e32 v22, v4, v6
	v_dual_fmac_f32 v8, 0x3f7c1c5c, v17 :: v_dual_fmac_f32 v5, v18, v32
	v_add_f32_e32 v18, v29, v9
	v_dual_add_f32 v30, v24, v25 :: v_dual_add_f32 v23, v3, v10
	v_mul_f32_e32 v10, 0xbf248dbb, v28
	s_delay_alu instid0(VALU_DEP_4) | instskip(SKIP_2) | instid1(VALU_DEP_3)
	v_sub_f32_e32 v12, v34, v5
	v_dual_add_f32 v26, v35, v7 :: v_dual_add_f32 v13, v34, v5
	v_dual_sub_f32 v19, v35, v7 :: v_dual_fmac_f32 v8, 0x3f5db3d7, v22
	v_mul_f32_e32 v5, 0x3f248dbb, v12
	v_fmac_f32_e32 v10, 0x3f7c1c5c, v14
	s_delay_alu instid0(VALU_DEP_4)
	v_fmamk_f32 v2, v13, 0x3f441b7d, v0
	v_add_f32_e32 v31, v21, v20
	v_fmac_f32_e32 v8, 0x3eaf1d44, v28
	v_fmac_f32_e32 v5, 0x3f7c1c5c, v16
	v_fmac_f32_e32 v10, 0xbf5db3d7, v22
	v_fmac_f32_e32 v2, 0x3e31d0d4, v18
	v_dual_add_f32 v29, v4, v6 :: v_dual_fmamk_f32 v6, v30, 0x3f441b7d, v0
	v_add_f32_e32 v32, v28, v14
	s_delay_alu instid0(VALU_DEP_4) | instskip(NEXT) | instid1(VALU_DEP_4)
	v_fmac_f32_e32 v10, 0x3eaf1d44, v17
	v_dual_fmac_f32 v2, -0.5, v26 :: v_dual_sub_f32 v27, v24, v25
	s_delay_alu instid0(VALU_DEP_4) | instskip(SKIP_2) | instid1(VALU_DEP_4)
	v_fmac_f32_e32 v6, 0x3e31d0d4, v13
	v_fmac_f32_e32 v5, 0x3f5db3d7, v19
	v_dual_fmamk_f32 v7, v31, 0x3f441b7d, v1 :: v_dual_sub_f32 v32, v32, v17
	v_fmac_f32_e32 v2, 0xbf708fb2, v30
	s_delay_alu instid0(VALU_DEP_4) | instskip(NEXT) | instid1(VALU_DEP_4)
	v_dual_fmamk_f32 v3, v15, 0x3f441b7d, v1 :: v_dual_fmac_f32 v6, -0.5, v26
	v_fmac_f32_e32 v5, 0x3eaf1d44, v27
	v_add_f32_e32 v11, v27, v12
	s_delay_alu instid0(VALU_DEP_4) | instskip(NEXT) | instid1(VALU_DEP_4)
	v_dual_sub_f32 v2, v2, v8 :: v_dual_mul_f32 v9, 0xbf248dbb, v27
	v_fmac_f32_e32 v6, 0xbf708fb2, v18
	v_fmac_f32_e32 v3, 0x3e31d0d4, v23
	v_add_f32_e32 v33, v18, v13
	v_fmac_f32_e32 v7, 0x3e31d0d4, v15
	v_fma_f32 v4, 2.0, v8, v2
	s_delay_alu instid0(VALU_DEP_4) | instskip(SKIP_2) | instid1(VALU_DEP_3)
	v_dual_sub_f32 v6, v6, v10 :: v_dual_fmac_f32 v3, -0.5, v29
	v_sub_f32_e32 v34, v11, v16
	v_dual_fmac_f32 v9, 0x3f7c1c5c, v12 :: v_dual_add_f32 v36, v30, v33
	v_fma_f32 v8, 2.0, v10, v6
	s_delay_alu instid0(VALU_DEP_4) | instskip(SKIP_1) | instid1(VALU_DEP_2)
	v_dual_add_f32 v10, v26, v0 :: v_dual_fmac_f32 v3, 0xbf708fb2, v31
	v_dual_mul_f32 v28, 0x3f7c1c5c, v28 :: v_dual_mul_f32 v27, 0x3f7c1c5c, v27
	v_dual_fmac_f32 v10, -0.5, v36 :: v_dual_add_f32 v3, v5, v3
	v_fmac_f32_e32 v9, 0xbf5db3d7, v19
	s_delay_alu instid0(VALU_DEP_3) | instskip(NEXT) | instid1(VALU_DEP_4)
	v_fma_f32 v28, 0xbf248dbb, v17, -v28
	v_fma_f32 v27, 0xbf248dbb, v16, -v27
	s_delay_alu instid0(VALU_DEP_4)
	v_fmac_f32_e32 v10, 0xbf5db3d7, v32
	v_mul_f32_e32 v36, 0x3f5db3d7, v32
	v_fma_f32 v5, -2.0, v5, v3
	v_fmac_f32_e32 v28, 0x3f5db3d7, v22
	v_fmac_f32_e32 v9, 0x3eaf1d44, v16
	v_dual_fmamk_f32 v16, v18, 0x3f441b7d, v0 :: v_dual_add_f32 v35, v23, v15
	s_delay_alu instid0(VALU_DEP_3) | instskip(NEXT) | instid1(VALU_DEP_2)
	v_fmac_f32_e32 v28, 0x3eaf1d44, v14
	v_fmac_f32_e32 v16, 0x3e31d0d4, v30
	s_delay_alu instid0(VALU_DEP_3) | instskip(SKIP_2) | instid1(VALU_DEP_4)
	v_dual_mul_f32 v37, 0x3f5db3d7, v34 :: v_dual_add_f32 v18, v29, v35
	v_fmamk_f32 v17, v23, 0x3f441b7d, v1
	v_dual_fmac_f32 v7, -0.5, v29 :: v_dual_add_f32 v38, v31, v35
	v_dual_add_f32 v11, v29, v1 :: v_dual_fmac_f32 v16, -0.5, v26
	s_delay_alu instid0(VALU_DEP_4) | instskip(NEXT) | instid1(VALU_DEP_3)
	v_dual_add_f32 v18, v21, v18 :: v_dual_fmac_f32 v27, 0x3f5db3d7, v19
	v_fmac_f32_e32 v7, 0xbf708fb2, v23
	s_delay_alu instid0(VALU_DEP_3) | instskip(NEXT) | instid1(VALU_DEP_3)
	v_dual_fmac_f32 v11, -0.5, v38 :: v_dual_fmac_f32 v16, 0xbf708fb2, v13
	v_dual_add_f32 v18, v20, v18 :: v_dual_fmac_f32 v27, 0x3eaf1d44, v12
	s_delay_alu instid0(VALU_DEP_2) | instskip(NEXT) | instid1(VALU_DEP_1)
	v_dual_add_f32 v12, v26, v33 :: v_dual_fmac_f32 v11, 0x3f5db3d7, v34
	v_dual_add_f32 v7, v9, v7 :: v_dual_add_f32 v14, v24, v12
	v_fma_f32 v12, 2.0, v36, v10
	s_delay_alu instid0(VALU_DEP_2) | instskip(NEXT) | instid1(VALU_DEP_3)
	v_fma_f32 v9, -2.0, v9, v7
	v_add_f32_e32 v19, v25, v14
	v_dual_fmac_f32 v17, 0x3e31d0d4, v31 :: v_dual_sub_f32 v14, v16, v28
	v_fma_f32 v13, -2.0, v37, v11
	s_delay_alu instid0(VALU_DEP_2) | instskip(SKIP_1) | instid1(VALU_DEP_2)
	v_dual_add_f32 v16, v19, v0 :: v_dual_fmac_f32 v17, -0.5, v29
	v_add_nc_u32_e32 v0, 0x800, v81
	v_fmac_f32_e32 v17, 0xbf708fb2, v15
	s_delay_alu instid0(VALU_DEP_1) | instskip(SKIP_3) | instid1(VALU_DEP_4)
	v_add_f32_e32 v15, v27, v17
	v_add_f32_e32 v17, v18, v1
	v_add_nc_u32_e32 v1, 0x400, v81
	v_fma_f32 v18, 2.0, v28, v14
	v_fma_f32 v19, -2.0, v27, v15
	ds_store_b64 v83, v[16:17]
	ds_store_2addr_b64 v81, v[2:3], v[6:7] offset0:51 offset1:102
	ds_store_2addr_b64 v81, v[10:11], v[14:15] offset0:153 offset1:204
	;; [unrolled: 1-line block ×4, first 2 shown]
	global_wb scope:SCOPE_SE
	s_wait_dscnt 0x0
	s_barrier_signal -1
	s_barrier_wait -1
	global_inv scope:SCOPE_SE
	s_and_b32 exec_lo, exec_lo, vcc_lo
	s_cbranch_execz .LBB0_15
; %bb.14:
	global_load_b64 v[2:3], v77, s[8:9]
	ds_load_b64 v[4:5], v83
	v_mad_co_u64_u32 v[8:9], null, s0, v78, 0
	s_mov_b32 s4, 0x672e4abd
	s_mov_b32 s5, 0x3f61d8f5
	s_wait_loadcnt_dscnt 0x0
	v_mul_f32_e32 v6, v5, v3
	v_mul_f32_e32 v3, v4, v3
	s_delay_alu instid0(VALU_DEP_2) | instskip(NEXT) | instid1(VALU_DEP_2)
	v_fmac_f32_e32 v6, v4, v2
	v_fma_f32 v4, v2, v5, -v3
	s_delay_alu instid0(VALU_DEP_2) | instskip(NEXT) | instid1(VALU_DEP_2)
	v_cvt_f64_f32_e32 v[2:3], v6
	v_cvt_f64_f32_e32 v[4:5], v4
	v_mad_co_u64_u32 v[6:7], null, s2, v48, 0
	s_wait_alu 0xfffe
	s_delay_alu instid0(VALU_DEP_3) | instskip(NEXT) | instid1(VALU_DEP_3)
	v_mul_f64_e32 v[2:3], s[4:5], v[2:3]
	v_mul_f64_e32 v[4:5], s[4:5], v[4:5]
	s_delay_alu instid0(VALU_DEP_2) | instskip(NEXT) | instid1(VALU_DEP_2)
	v_cvt_f32_f64_e32 v2, v[2:3]
	v_cvt_f32_f64_e32 v3, v[4:5]
	v_dual_mov_b32 v5, v9 :: v_dual_mov_b32 v4, v7
	s_delay_alu instid0(VALU_DEP_1) | instskip(SKIP_2) | instid1(VALU_DEP_2)
	v_mad_co_u64_u32 v[9:10], null, s3, v48, v[4:5]
	v_mad_co_u64_u32 v[4:5], null, s1, v78, v[5:6]
	s_mul_u64 s[0:1], s[0:1], 0xd8
	v_mov_b32_e32 v7, v9
	s_delay_alu instid0(VALU_DEP_2) | instskip(NEXT) | instid1(VALU_DEP_2)
	v_mov_b32_e32 v9, v4
	v_lshlrev_b64_e32 v[4:5], 3, v[6:7]
	s_delay_alu instid0(VALU_DEP_2) | instskip(NEXT) | instid1(VALU_DEP_2)
	v_lshlrev_b64_e32 v[6:7], 3, v[8:9]
	v_add_co_u32 v4, vcc_lo, s12, v4
	s_delay_alu instid0(VALU_DEP_3) | instskip(NEXT) | instid1(VALU_DEP_2)
	v_add_co_ci_u32_e32 v5, vcc_lo, s13, v5, vcc_lo
	v_add_co_u32 v6, vcc_lo, v4, v6
	s_wait_alu 0xfffd
	s_delay_alu instid0(VALU_DEP_2)
	v_add_co_ci_u32_e32 v7, vcc_lo, v5, v7, vcc_lo
	global_store_b64 v[6:7], v[2:3], off
	global_load_b64 v[8:9], v77, s[8:9] offset:216
	ds_load_2addr_b64 v[2:5], v81 offset0:27 offset1:54
	s_wait_alu 0xfffe
	v_add_co_u32 v6, vcc_lo, v6, s0
	s_wait_alu 0xfffd
	v_add_co_ci_u32_e32 v7, vcc_lo, s1, v7, vcc_lo
	s_wait_loadcnt_dscnt 0x0
	v_mul_f32_e32 v10, v3, v9
	v_mul_f32_e32 v9, v2, v9
	s_delay_alu instid0(VALU_DEP_2) | instskip(NEXT) | instid1(VALU_DEP_2)
	v_fmac_f32_e32 v10, v2, v8
	v_fma_f32 v8, v8, v3, -v9
	s_delay_alu instid0(VALU_DEP_2) | instskip(NEXT) | instid1(VALU_DEP_2)
	v_cvt_f64_f32_e32 v[2:3], v10
	v_cvt_f64_f32_e32 v[8:9], v8
	s_delay_alu instid0(VALU_DEP_2) | instskip(NEXT) | instid1(VALU_DEP_2)
	v_mul_f64_e32 v[2:3], s[4:5], v[2:3]
	v_mul_f64_e32 v[8:9], s[4:5], v[8:9]
	s_delay_alu instid0(VALU_DEP_2) | instskip(NEXT) | instid1(VALU_DEP_2)
	v_cvt_f32_f64_e32 v2, v[2:3]
	v_cvt_f32_f64_e32 v3, v[8:9]
	global_store_b64 v[6:7], v[2:3], off
	global_load_b64 v[2:3], v77, s[8:9] offset:432
	v_add_co_u32 v6, vcc_lo, v6, s0
	s_wait_alu 0xfffd
	v_add_co_ci_u32_e32 v7, vcc_lo, s1, v7, vcc_lo
	s_wait_loadcnt 0x0
	v_mul_f32_e32 v8, v5, v3
	v_mul_f32_e32 v3, v4, v3
	s_delay_alu instid0(VALU_DEP_2) | instskip(NEXT) | instid1(VALU_DEP_2)
	v_fmac_f32_e32 v8, v4, v2
	v_fma_f32 v4, v2, v5, -v3
	s_delay_alu instid0(VALU_DEP_2) | instskip(NEXT) | instid1(VALU_DEP_2)
	v_cvt_f64_f32_e32 v[2:3], v8
	v_cvt_f64_f32_e32 v[4:5], v4
	s_delay_alu instid0(VALU_DEP_2) | instskip(NEXT) | instid1(VALU_DEP_2)
	v_mul_f64_e32 v[2:3], s[4:5], v[2:3]
	v_mul_f64_e32 v[4:5], s[4:5], v[4:5]
	s_delay_alu instid0(VALU_DEP_2) | instskip(NEXT) | instid1(VALU_DEP_2)
	v_cvt_f32_f64_e32 v2, v[2:3]
	v_cvt_f32_f64_e32 v3, v[4:5]
	global_store_b64 v[6:7], v[2:3], off
	global_load_b64 v[8:9], v77, s[8:9] offset:648
	ds_load_2addr_b64 v[2:5], v81 offset0:81 offset1:108
	v_add_co_u32 v6, vcc_lo, v6, s0
	s_wait_alu 0xfffd
	v_add_co_ci_u32_e32 v7, vcc_lo, s1, v7, vcc_lo
	s_wait_loadcnt_dscnt 0x0
	v_mul_f32_e32 v10, v3, v9
	v_mul_f32_e32 v9, v2, v9
	s_delay_alu instid0(VALU_DEP_2) | instskip(NEXT) | instid1(VALU_DEP_2)
	v_fmac_f32_e32 v10, v2, v8
	v_fma_f32 v8, v8, v3, -v9
	s_delay_alu instid0(VALU_DEP_2) | instskip(NEXT) | instid1(VALU_DEP_2)
	v_cvt_f64_f32_e32 v[2:3], v10
	v_cvt_f64_f32_e32 v[8:9], v8
	s_delay_alu instid0(VALU_DEP_2) | instskip(NEXT) | instid1(VALU_DEP_2)
	v_mul_f64_e32 v[2:3], s[4:5], v[2:3]
	v_mul_f64_e32 v[8:9], s[4:5], v[8:9]
	s_delay_alu instid0(VALU_DEP_2) | instskip(NEXT) | instid1(VALU_DEP_2)
	v_cvt_f32_f64_e32 v2, v[2:3]
	v_cvt_f32_f64_e32 v3, v[8:9]
	global_store_b64 v[6:7], v[2:3], off
	global_load_b64 v[2:3], v77, s[8:9] offset:864
	v_add_co_u32 v6, vcc_lo, v6, s0
	s_wait_alu 0xfffd
	v_add_co_ci_u32_e32 v7, vcc_lo, s1, v7, vcc_lo
	s_wait_loadcnt 0x0
	v_mul_f32_e32 v8, v5, v3
	v_mul_f32_e32 v3, v4, v3
	s_delay_alu instid0(VALU_DEP_2) | instskip(NEXT) | instid1(VALU_DEP_2)
	v_fmac_f32_e32 v8, v4, v2
	v_fma_f32 v4, v2, v5, -v3
	s_delay_alu instid0(VALU_DEP_2) | instskip(NEXT) | instid1(VALU_DEP_2)
	v_cvt_f64_f32_e32 v[2:3], v8
	v_cvt_f64_f32_e32 v[4:5], v4
	s_delay_alu instid0(VALU_DEP_2) | instskip(NEXT) | instid1(VALU_DEP_2)
	v_mul_f64_e32 v[2:3], s[4:5], v[2:3]
	v_mul_f64_e32 v[4:5], s[4:5], v[4:5]
	s_delay_alu instid0(VALU_DEP_2) | instskip(NEXT) | instid1(VALU_DEP_2)
	v_cvt_f32_f64_e32 v2, v[2:3]
	v_cvt_f32_f64_e32 v3, v[4:5]
	global_store_b64 v[6:7], v[2:3], off
	global_load_b64 v[8:9], v77, s[8:9] offset:1080
	ds_load_2addr_b64 v[2:5], v81 offset0:135 offset1:162
	;; [unrolled: 41-line block ×3, first 2 shown]
	v_add_co_u32 v6, vcc_lo, v6, s0
	s_wait_alu 0xfffd
	v_add_co_ci_u32_e32 v7, vcc_lo, s1, v7, vcc_lo
	s_wait_loadcnt_dscnt 0x0
	v_mul_f32_e32 v10, v3, v9
	v_mul_f32_e32 v9, v2, v9
	s_delay_alu instid0(VALU_DEP_2) | instskip(NEXT) | instid1(VALU_DEP_2)
	v_fmac_f32_e32 v10, v2, v8
	v_fma_f32 v8, v8, v3, -v9
	s_delay_alu instid0(VALU_DEP_2) | instskip(NEXT) | instid1(VALU_DEP_2)
	v_cvt_f64_f32_e32 v[2:3], v10
	v_cvt_f64_f32_e32 v[8:9], v8
	s_delay_alu instid0(VALU_DEP_2) | instskip(NEXT) | instid1(VALU_DEP_2)
	v_mul_f64_e32 v[2:3], s[4:5], v[2:3]
	v_mul_f64_e32 v[8:9], s[4:5], v[8:9]
	s_delay_alu instid0(VALU_DEP_2) | instskip(NEXT) | instid1(VALU_DEP_2)
	v_cvt_f32_f64_e32 v2, v[2:3]
	v_cvt_f32_f64_e32 v3, v[8:9]
	global_store_b64 v[6:7], v[2:3], off
	global_load_b64 v[2:3], v77, s[8:9] offset:1728
	s_wait_loadcnt 0x0
	v_mul_f32_e32 v8, v5, v3
	v_mul_f32_e32 v3, v4, v3
	s_delay_alu instid0(VALU_DEP_2) | instskip(NEXT) | instid1(VALU_DEP_2)
	v_fmac_f32_e32 v8, v4, v2
	v_fma_f32 v4, v2, v5, -v3
	s_delay_alu instid0(VALU_DEP_2) | instskip(NEXT) | instid1(VALU_DEP_2)
	v_cvt_f64_f32_e32 v[2:3], v8
	v_cvt_f64_f32_e32 v[4:5], v4
	s_delay_alu instid0(VALU_DEP_2) | instskip(NEXT) | instid1(VALU_DEP_2)
	v_mul_f64_e32 v[2:3], s[4:5], v[2:3]
	v_mul_f64_e32 v[4:5], s[4:5], v[4:5]
	s_delay_alu instid0(VALU_DEP_2) | instskip(NEXT) | instid1(VALU_DEP_2)
	v_cvt_f32_f64_e32 v2, v[2:3]
	v_cvt_f32_f64_e32 v3, v[4:5]
	v_add_co_u32 v5, vcc_lo, v6, s0
	s_wait_alu 0xfffd
	v_add_co_ci_u32_e32 v6, vcc_lo, s1, v7, vcc_lo
	global_store_b64 v[5:6], v[2:3], off
	global_load_b64 v[7:8], v77, s[8:9] offset:1944
	ds_load_2addr_b64 v[1:4], v1 offset0:115 offset1:142
	v_add_co_u32 v5, vcc_lo, v5, s0
	s_wait_alu 0xfffd
	v_add_co_ci_u32_e32 v6, vcc_lo, s1, v6, vcc_lo
	s_wait_loadcnt_dscnt 0x0
	v_mul_f32_e32 v9, v2, v8
	v_mul_f32_e32 v8, v1, v8
	s_delay_alu instid0(VALU_DEP_2) | instskip(NEXT) | instid1(VALU_DEP_2)
	v_fmac_f32_e32 v9, v1, v7
	v_fma_f32 v7, v7, v2, -v8
	s_delay_alu instid0(VALU_DEP_2) | instskip(NEXT) | instid1(VALU_DEP_2)
	v_cvt_f64_f32_e32 v[1:2], v9
	v_cvt_f64_f32_e32 v[7:8], v7
	s_delay_alu instid0(VALU_DEP_2) | instskip(NEXT) | instid1(VALU_DEP_2)
	v_mul_f64_e32 v[1:2], s[4:5], v[1:2]
	v_mul_f64_e32 v[7:8], s[4:5], v[7:8]
	s_delay_alu instid0(VALU_DEP_2) | instskip(NEXT) | instid1(VALU_DEP_2)
	v_cvt_f32_f64_e32 v1, v[1:2]
	v_cvt_f32_f64_e32 v2, v[7:8]
	global_store_b64 v[5:6], v[1:2], off
	global_load_b64 v[1:2], v77, s[8:9] offset:2160
	v_add_co_u32 v5, vcc_lo, v5, s0
	s_wait_alu 0xfffd
	v_add_co_ci_u32_e32 v6, vcc_lo, s1, v6, vcc_lo
	s_wait_loadcnt 0x0
	v_mul_f32_e32 v7, v4, v2
	v_mul_f32_e32 v2, v3, v2
	s_delay_alu instid0(VALU_DEP_2) | instskip(NEXT) | instid1(VALU_DEP_2)
	v_fmac_f32_e32 v7, v3, v1
	v_fma_f32 v3, v1, v4, -v2
	s_delay_alu instid0(VALU_DEP_2) | instskip(NEXT) | instid1(VALU_DEP_2)
	v_cvt_f64_f32_e32 v[1:2], v7
	v_cvt_f64_f32_e32 v[3:4], v3
	s_delay_alu instid0(VALU_DEP_2) | instskip(NEXT) | instid1(VALU_DEP_2)
	v_mul_f64_e32 v[1:2], s[4:5], v[1:2]
	v_mul_f64_e32 v[3:4], s[4:5], v[3:4]
	s_delay_alu instid0(VALU_DEP_2) | instskip(NEXT) | instid1(VALU_DEP_2)
	v_cvt_f32_f64_e32 v1, v[1:2]
	v_cvt_f32_f64_e32 v2, v[3:4]
	global_store_b64 v[5:6], v[1:2], off
	global_load_b64 v[7:8], v77, s[8:9] offset:2376
	ds_load_2addr_b64 v[1:4], v0 offset0:41 offset1:68
	v_add_co_u32 v5, vcc_lo, v5, s0
	s_wait_alu 0xfffd
	v_add_co_ci_u32_e32 v6, vcc_lo, s1, v6, vcc_lo
	s_wait_loadcnt_dscnt 0x0
	v_mul_f32_e32 v9, v2, v8
	v_mul_f32_e32 v8, v1, v8
	s_delay_alu instid0(VALU_DEP_2) | instskip(NEXT) | instid1(VALU_DEP_2)
	v_fmac_f32_e32 v9, v1, v7
	v_fma_f32 v7, v7, v2, -v8
	s_delay_alu instid0(VALU_DEP_2) | instskip(NEXT) | instid1(VALU_DEP_2)
	v_cvt_f64_f32_e32 v[1:2], v9
	v_cvt_f64_f32_e32 v[7:8], v7
	s_delay_alu instid0(VALU_DEP_2) | instskip(NEXT) | instid1(VALU_DEP_2)
	v_mul_f64_e32 v[1:2], s[4:5], v[1:2]
	v_mul_f64_e32 v[7:8], s[4:5], v[7:8]
	s_delay_alu instid0(VALU_DEP_2) | instskip(NEXT) | instid1(VALU_DEP_2)
	v_cvt_f32_f64_e32 v1, v[1:2]
	v_cvt_f32_f64_e32 v2, v[7:8]
	global_store_b64 v[5:6], v[1:2], off
	global_load_b64 v[1:2], v77, s[8:9] offset:2592
	v_add_co_u32 v5, vcc_lo, v5, s0
	s_wait_alu 0xfffd
	v_add_co_ci_u32_e32 v6, vcc_lo, s1, v6, vcc_lo
	s_wait_loadcnt 0x0
	v_mul_f32_e32 v7, v4, v2
	v_mul_f32_e32 v2, v3, v2
	s_delay_alu instid0(VALU_DEP_2) | instskip(NEXT) | instid1(VALU_DEP_2)
	v_fmac_f32_e32 v7, v3, v1
	v_fma_f32 v3, v1, v4, -v2
	s_delay_alu instid0(VALU_DEP_2) | instskip(NEXT) | instid1(VALU_DEP_2)
	v_cvt_f64_f32_e32 v[1:2], v7
	v_cvt_f64_f32_e32 v[3:4], v3
	s_delay_alu instid0(VALU_DEP_2) | instskip(NEXT) | instid1(VALU_DEP_2)
	v_mul_f64_e32 v[1:2], s[4:5], v[1:2]
	v_mul_f64_e32 v[3:4], s[4:5], v[3:4]
	s_delay_alu instid0(VALU_DEP_2) | instskip(NEXT) | instid1(VALU_DEP_2)
	v_cvt_f32_f64_e32 v1, v[1:2]
	v_cvt_f32_f64_e32 v2, v[3:4]
	global_store_b64 v[5:6], v[1:2], off
	global_load_b64 v[7:8], v77, s[8:9] offset:2808
	ds_load_2addr_b64 v[1:4], v0 offset0:95 offset1:122
	v_add_co_u32 v5, vcc_lo, v5, s0
	s_wait_alu 0xfffd
	v_add_co_ci_u32_e32 v6, vcc_lo, s1, v6, vcc_lo
	s_wait_loadcnt_dscnt 0x0
	v_mul_f32_e32 v9, v2, v8
	v_mul_f32_e32 v8, v1, v8
	s_delay_alu instid0(VALU_DEP_2) | instskip(NEXT) | instid1(VALU_DEP_2)
	v_fmac_f32_e32 v9, v1, v7
	v_fma_f32 v7, v7, v2, -v8
	s_delay_alu instid0(VALU_DEP_2) | instskip(NEXT) | instid1(VALU_DEP_2)
	v_cvt_f64_f32_e32 v[1:2], v9
	v_cvt_f64_f32_e32 v[7:8], v7
	s_delay_alu instid0(VALU_DEP_2) | instskip(NEXT) | instid1(VALU_DEP_2)
	v_mul_f64_e32 v[1:2], s[4:5], v[1:2]
	v_mul_f64_e32 v[7:8], s[4:5], v[7:8]
	s_delay_alu instid0(VALU_DEP_2) | instskip(NEXT) | instid1(VALU_DEP_2)
	v_cvt_f32_f64_e32 v1, v[1:2]
	v_cvt_f32_f64_e32 v2, v[7:8]
	global_store_b64 v[5:6], v[1:2], off
	global_load_b64 v[1:2], v77, s[8:9] offset:3024
	s_wait_loadcnt 0x0
	v_mul_f32_e32 v7, v4, v2
	v_mul_f32_e32 v2, v3, v2
	s_delay_alu instid0(VALU_DEP_2) | instskip(NEXT) | instid1(VALU_DEP_2)
	v_fmac_f32_e32 v7, v3, v1
	v_fma_f32 v3, v1, v4, -v2
	s_delay_alu instid0(VALU_DEP_2) | instskip(NEXT) | instid1(VALU_DEP_2)
	v_cvt_f64_f32_e32 v[1:2], v7
	v_cvt_f64_f32_e32 v[3:4], v3
	s_delay_alu instid0(VALU_DEP_2) | instskip(NEXT) | instid1(VALU_DEP_2)
	v_mul_f64_e32 v[1:2], s[4:5], v[1:2]
	v_mul_f64_e32 v[3:4], s[4:5], v[3:4]
	s_delay_alu instid0(VALU_DEP_2) | instskip(NEXT) | instid1(VALU_DEP_2)
	v_cvt_f32_f64_e32 v1, v[1:2]
	v_cvt_f32_f64_e32 v2, v[3:4]
	v_add_co_u32 v4, vcc_lo, v5, s0
	s_wait_alu 0xfffd
	v_add_co_ci_u32_e32 v5, vcc_lo, s1, v6, vcc_lo
	global_store_b64 v[4:5], v[1:2], off
	global_load_b64 v[6:7], v77, s[8:9] offset:3240
	ds_load_2addr_b64 v[0:3], v0 offset0:149 offset1:176
	v_add_co_u32 v4, vcc_lo, v4, s0
	s_wait_alu 0xfffd
	v_add_co_ci_u32_e32 v5, vcc_lo, s1, v5, vcc_lo
	s_wait_loadcnt_dscnt 0x0
	v_mul_f32_e32 v8, v1, v7
	v_mul_f32_e32 v7, v0, v7
	s_delay_alu instid0(VALU_DEP_2) | instskip(NEXT) | instid1(VALU_DEP_2)
	v_fmac_f32_e32 v8, v0, v6
	v_fma_f32 v6, v6, v1, -v7
	s_delay_alu instid0(VALU_DEP_2) | instskip(NEXT) | instid1(VALU_DEP_2)
	v_cvt_f64_f32_e32 v[0:1], v8
	v_cvt_f64_f32_e32 v[6:7], v6
	s_delay_alu instid0(VALU_DEP_2) | instskip(NEXT) | instid1(VALU_DEP_2)
	v_mul_f64_e32 v[0:1], s[4:5], v[0:1]
	v_mul_f64_e32 v[6:7], s[4:5], v[6:7]
	s_delay_alu instid0(VALU_DEP_2) | instskip(NEXT) | instid1(VALU_DEP_2)
	v_cvt_f32_f64_e32 v0, v[0:1]
	v_cvt_f32_f64_e32 v1, v[6:7]
	global_store_b64 v[4:5], v[0:1], off
	global_load_b64 v[0:1], v77, s[8:9] offset:3456
	s_wait_loadcnt 0x0
	v_mul_f32_e32 v6, v3, v1
	v_mul_f32_e32 v1, v2, v1
	s_delay_alu instid0(VALU_DEP_2) | instskip(NEXT) | instid1(VALU_DEP_2)
	v_fmac_f32_e32 v6, v2, v0
	v_fma_f32 v2, v0, v3, -v1
	s_delay_alu instid0(VALU_DEP_2) | instskip(NEXT) | instid1(VALU_DEP_2)
	v_cvt_f64_f32_e32 v[0:1], v6
	v_cvt_f64_f32_e32 v[2:3], v2
	s_delay_alu instid0(VALU_DEP_2) | instskip(NEXT) | instid1(VALU_DEP_2)
	v_mul_f64_e32 v[0:1], s[4:5], v[0:1]
	v_mul_f64_e32 v[2:3], s[4:5], v[2:3]
	s_delay_alu instid0(VALU_DEP_2) | instskip(NEXT) | instid1(VALU_DEP_2)
	v_cvt_f32_f64_e32 v0, v[0:1]
	v_cvt_f32_f64_e32 v1, v[2:3]
	v_add_co_u32 v2, vcc_lo, v4, s0
	s_wait_alu 0xfffd
	v_add_co_ci_u32_e32 v3, vcc_lo, s1, v5, vcc_lo
	global_store_b64 v[2:3], v[0:1], off
.LBB0_15:
	s_nop 0
	s_sendmsg sendmsg(MSG_DEALLOC_VGPRS)
	s_endpgm
	.section	.rodata,"a",@progbits
	.p2align	6, 0x0
	.amdhsa_kernel bluestein_single_fwd_len459_dim1_sp_op_CI_CI
		.amdhsa_group_segment_fixed_size 18360
		.amdhsa_private_segment_fixed_size 0
		.amdhsa_kernarg_size 104
		.amdhsa_user_sgpr_count 2
		.amdhsa_user_sgpr_dispatch_ptr 0
		.amdhsa_user_sgpr_queue_ptr 0
		.amdhsa_user_sgpr_kernarg_segment_ptr 1
		.amdhsa_user_sgpr_dispatch_id 0
		.amdhsa_user_sgpr_private_segment_size 0
		.amdhsa_wavefront_size32 1
		.amdhsa_uses_dynamic_stack 0
		.amdhsa_enable_private_segment 0
		.amdhsa_system_sgpr_workgroup_id_x 1
		.amdhsa_system_sgpr_workgroup_id_y 0
		.amdhsa_system_sgpr_workgroup_id_z 0
		.amdhsa_system_sgpr_workgroup_info 0
		.amdhsa_system_vgpr_workitem_id 0
		.amdhsa_next_free_vgpr 234
		.amdhsa_next_free_sgpr 14
		.amdhsa_reserve_vcc 1
		.amdhsa_float_round_mode_32 0
		.amdhsa_float_round_mode_16_64 0
		.amdhsa_float_denorm_mode_32 3
		.amdhsa_float_denorm_mode_16_64 3
		.amdhsa_fp16_overflow 0
		.amdhsa_workgroup_processor_mode 1
		.amdhsa_memory_ordered 1
		.amdhsa_forward_progress 0
		.amdhsa_round_robin_scheduling 0
		.amdhsa_exception_fp_ieee_invalid_op 0
		.amdhsa_exception_fp_denorm_src 0
		.amdhsa_exception_fp_ieee_div_zero 0
		.amdhsa_exception_fp_ieee_overflow 0
		.amdhsa_exception_fp_ieee_underflow 0
		.amdhsa_exception_fp_ieee_inexact 0
		.amdhsa_exception_int_div_zero 0
	.end_amdhsa_kernel
	.text
.Lfunc_end0:
	.size	bluestein_single_fwd_len459_dim1_sp_op_CI_CI, .Lfunc_end0-bluestein_single_fwd_len459_dim1_sp_op_CI_CI
                                        ; -- End function
	.section	.AMDGPU.csdata,"",@progbits
; Kernel info:
; codeLenInByte = 19016
; NumSgprs: 16
; NumVgprs: 234
; ScratchSize: 0
; MemoryBound: 0
; FloatMode: 240
; IeeeMode: 1
; LDSByteSize: 18360 bytes/workgroup (compile time only)
; SGPRBlocks: 1
; VGPRBlocks: 29
; NumSGPRsForWavesPerEU: 16
; NumVGPRsForWavesPerEU: 234
; Occupancy: 6
; WaveLimiterHint : 1
; COMPUTE_PGM_RSRC2:SCRATCH_EN: 0
; COMPUTE_PGM_RSRC2:USER_SGPR: 2
; COMPUTE_PGM_RSRC2:TRAP_HANDLER: 0
; COMPUTE_PGM_RSRC2:TGID_X_EN: 1
; COMPUTE_PGM_RSRC2:TGID_Y_EN: 0
; COMPUTE_PGM_RSRC2:TGID_Z_EN: 0
; COMPUTE_PGM_RSRC2:TIDIG_COMP_CNT: 0
	.text
	.p2alignl 7, 3214868480
	.fill 96, 4, 3214868480
	.type	__hip_cuid_93cb60b2da5d86da,@object ; @__hip_cuid_93cb60b2da5d86da
	.section	.bss,"aw",@nobits
	.globl	__hip_cuid_93cb60b2da5d86da
__hip_cuid_93cb60b2da5d86da:
	.byte	0                               ; 0x0
	.size	__hip_cuid_93cb60b2da5d86da, 1

	.ident	"AMD clang version 19.0.0git (https://github.com/RadeonOpenCompute/llvm-project roc-6.4.0 25133 c7fe45cf4b819c5991fe208aaa96edf142730f1d)"
	.section	".note.GNU-stack","",@progbits
	.addrsig
	.addrsig_sym __hip_cuid_93cb60b2da5d86da
	.amdgpu_metadata
---
amdhsa.kernels:
  - .args:
      - .actual_access:  read_only
        .address_space:  global
        .offset:         0
        .size:           8
        .value_kind:     global_buffer
      - .actual_access:  read_only
        .address_space:  global
        .offset:         8
        .size:           8
        .value_kind:     global_buffer
      - .actual_access:  read_only
        .address_space:  global
        .offset:         16
        .size:           8
        .value_kind:     global_buffer
      - .actual_access:  read_only
        .address_space:  global
        .offset:         24
        .size:           8
        .value_kind:     global_buffer
      - .actual_access:  read_only
        .address_space:  global
        .offset:         32
        .size:           8
        .value_kind:     global_buffer
      - .offset:         40
        .size:           8
        .value_kind:     by_value
      - .address_space:  global
        .offset:         48
        .size:           8
        .value_kind:     global_buffer
      - .address_space:  global
        .offset:         56
        .size:           8
        .value_kind:     global_buffer
      - .address_space:  global
        .offset:         64
        .size:           8
        .value_kind:     global_buffer
      - .address_space:  global
        .offset:         72
        .size:           8
        .value_kind:     global_buffer
      - .offset:         80
        .size:           4
        .value_kind:     by_value
      - .address_space:  global
        .offset:         88
        .size:           8
        .value_kind:     global_buffer
      - .address_space:  global
        .offset:         96
        .size:           8
        .value_kind:     global_buffer
    .group_segment_fixed_size: 18360
    .kernarg_segment_align: 8
    .kernarg_segment_size: 104
    .language:       OpenCL C
    .language_version:
      - 2
      - 0
    .max_flat_workgroup_size: 255
    .name:           bluestein_single_fwd_len459_dim1_sp_op_CI_CI
    .private_segment_fixed_size: 0
    .sgpr_count:     16
    .sgpr_spill_count: 0
    .symbol:         bluestein_single_fwd_len459_dim1_sp_op_CI_CI.kd
    .uniform_work_group_size: 1
    .uses_dynamic_stack: false
    .vgpr_count:     234
    .vgpr_spill_count: 0
    .wavefront_size: 32
    .workgroup_processor_mode: 1
amdhsa.target:   amdgcn-amd-amdhsa--gfx1201
amdhsa.version:
  - 1
  - 2
...

	.end_amdgpu_metadata
